;; amdgpu-corpus repo=ROCm/rocSOLVER kind=compiled arch=gfx906 opt=O3
	.amdgcn_target "amdgcn-amd-amdhsa--gfx906"
	.amdhsa_code_object_version 6
	.section	.text._ZN9rocsolver6v33100L19stedc_update_splitsEiiiPi,"axG",@progbits,_ZN9rocsolver6v33100L19stedc_update_splitsEiiiPi,comdat
	.globl	_ZN9rocsolver6v33100L19stedc_update_splitsEiiiPi ; -- Begin function _ZN9rocsolver6v33100L19stedc_update_splitsEiiiPi
	.p2align	8
	.type	_ZN9rocsolver6v33100L19stedc_update_splitsEiiiPi,@function
_ZN9rocsolver6v33100L19stedc_update_splitsEiiiPi: ; @_ZN9rocsolver6v33100L19stedc_update_splitsEiiiPi
; %bb.0:
	s_load_dwordx4 s[8:11], s[4:5], 0x0
	s_load_dwordx2 s[0:1], s[4:5], 0x10
	s_waitcnt lgkmcnt(0)
	s_mul_i32 s2, s7, s10
	s_mul_i32 s2, s2, 13
	s_ashr_i32 s3, s2, 31
	s_lshl_b64 s[12:13], s[2:3], 2
	s_add_u32 s18, s0, s12
	s_addc_u32 s20, s1, s13
	s_lshl_b32 s2, s10, 2
	s_ashr_i32 s3, s2, 31
	s_lshl_b64 s[14:15], s[2:3], 2
	s_add_u32 s16, s18, s14
	s_addc_u32 s17, s20, s15
	s_ashr_i32 s11, s10, 31
	s_mul_i32 s3, s10, -12
	s_mul_hi_i32 s2, s10, -12
	s_add_u32 s19, s16, s3
	s_addc_u32 s21, s17, s2
	s_lshl_b32 s22, 1, s8
	s_cmp_eq_u32 s9, 0
	s_cselect_b64 s[2:3], -1, 0
	v_cmp_gt_i32_e32 vcc, s22, v0
	s_and_b64 s[6:7], s[2:3], vcc
	s_and_saveexec_b64 s[2:3], s[6:7]
	s_cbranch_execz .LBB0_6
; %bb.1:
	s_load_dword s23, s[4:5], 0x24
	s_mov_b64 s[6:7], 0
	v_mov_b32_e32 v4, s20
	v_mov_b32_e32 v1, v0
	s_waitcnt lgkmcnt(0)
	s_and_b32 s23, s23, 0xffff
	s_add_u32 s12, s12, s14
	s_addc_u32 s13, s13, s15
	s_add_u32 s24, s0, s12
	s_addc_u32 s25, s1, s13
	s_branch .LBB0_3
.LBB0_2:                                ;   in Loop: Header=BB0_3 Depth=1
	s_or_b64 exec, exec, s[12:13]
	v_add_u32_e32 v1, s23, v1
	v_cmp_le_i32_e32 vcc, s22, v1
	s_or_b64 s[6:7], vcc, s[6:7]
	s_andn2_b64 exec, exec, s[6:7]
	s_cbranch_execz .LBB0_6
.LBB0_3:                                ; =>This Loop Header: Depth=1
                                        ;     Child Loop BB0_5 Depth 2
	v_ashrrev_i32_e32 v2, 31, v1
	v_lshlrev_b64 v[2:3], 2, v[1:2]
	v_add_co_u32_e32 v5, vcc, s18, v2
	v_addc_co_u32_e32 v6, vcc, v4, v3, vcc
	global_load_dword v5, v[5:6], off
	s_waitcnt vmcnt(0)
	v_cmp_lt_i32_e32 vcc, 0, v5
	s_and_saveexec_b64 s[12:13], vcc
	s_cbranch_execz .LBB0_2
; %bb.4:                                ;   in Loop: Header=BB0_3 Depth=1
	v_mov_b32_e32 v6, s21
	v_add_co_u32_e32 v2, vcc, s19, v2
	v_addc_co_u32_e32 v3, vcc, v6, v3, vcc
	global_load_dword v2, v[2:3], off
	v_mov_b32_e32 v6, s25
	s_mov_b64 s[14:15], 0
	s_waitcnt vmcnt(0)
	v_ashrrev_i32_e32 v3, 31, v2
	v_lshlrev_b64 v[2:3], 2, v[2:3]
	v_add_co_u32_e32 v2, vcc, s24, v2
	v_addc_co_u32_e32 v3, vcc, v6, v3, vcc
.LBB0_5:                                ;   Parent Loop BB0_3 Depth=1
                                        ; =>  This Inner Loop Header: Depth=2
	v_add_u32_e32 v5, -1, v5
	global_store_dword v[2:3], v1, off
	v_add_co_u32_e32 v2, vcc, 4, v2
	v_cmp_eq_u32_e64 s[0:1], 0, v5
	s_or_b64 s[14:15], s[0:1], s[14:15]
	v_addc_co_u32_e32 v3, vcc, 0, v3, vcc
	s_andn2_b64 exec, exec, s[14:15]
	s_cbranch_execnz .LBB0_5
	s_branch .LBB0_2
.LBB0_6:
	s_or_b64 exec, exec, s[2:3]
	s_lshl_b64 s[6:7], s[10:11], 4
	s_add_u32 s12, s19, s6
	s_addc_u32 s13, s21, s7
	s_lshl_b64 s[2:3], s[10:11], 2
	s_add_u32 s11, s12, s2
	s_addc_u32 s14, s13, s3
	s_sub_u32 s6, 0, s6
	s_subb_u32 s7, 0, s7
	s_add_u32 s23, s11, s6
	s_addc_u32 s24, s14, s7
	s_add_u32 s15, s23, s2
	s_addc_u32 s22, s24, s3
	s_not_b32 s6, s9
	s_add_i32 s8, s8, s6
	s_lshl_b32 s9, 2, s8
	s_mov_b64 s[0:1], 0
	v_cmp_gt_i32_e32 vcc, s9, v0
	s_and_saveexec_b64 s[6:7], vcc
	s_cbranch_execz .LBB0_9
; %bb.7:
	s_load_dword s25, s[4:5], 0x24
	v_mov_b32_e32 v3, s20
	v_mov_b32_e32 v4, s24
	;; [unrolled: 1-line block ×4, first 2 shown]
	s_waitcnt lgkmcnt(0)
	s_and_b32 s25, s25, 0xffff
	v_mov_b32_e32 v1, v0
.LBB0_8:                                ; =>This Inner Loop Header: Depth=1
	v_ashrrev_i32_e32 v2, 31, v1
	v_lshlrev_b64 v[7:8], 2, v[1:2]
	v_add_u32_e32 v1, s25, v1
	v_add_co_u32_e32 v9, vcc, s18, v7
	v_addc_co_u32_e32 v10, vcc, v3, v8, vcc
	global_load_dword v2, v[9:10], off
	v_add_co_u32_e32 v9, vcc, s23, v7
	v_addc_co_u32_e32 v10, vcc, v4, v8, vcc
	s_waitcnt vmcnt(0)
	global_store_dword v[9:10], v2, off
	v_add_co_u32_e32 v9, vcc, s19, v7
	v_addc_co_u32_e32 v10, vcc, v5, v8, vcc
	global_load_dword v2, v[9:10], off
	v_add_co_u32_e32 v7, vcc, s15, v7
	v_addc_co_u32_e32 v8, vcc, v6, v8, vcc
	v_cmp_le_i32_e32 vcc, s9, v1
	s_or_b64 s[0:1], vcc, s[0:1]
	s_waitcnt vmcnt(0)
	global_store_dword v[7:8], v2, off
	s_andn2_b64 exec, exec, s[0:1]
	s_cbranch_execnz .LBB0_8
.LBB0_9:
	s_or_b64 exec, exec, s[6:7]
	s_lshl_b32 s25, 1, s8
	v_cmp_gt_i32_e32 vcc, s25, v0
	s_waitcnt vmcnt(0)
	s_barrier
	s_and_saveexec_b64 s[6:7], vcc
	s_cbranch_execz .LBB0_12
; %bb.10:
	s_load_dword s0, s[4:5], 0x24
	v_mov_b32_e32 v5, s24
	v_lshlrev_b32_e32 v1, 1, v0
	s_mov_b64 s[8:9], 0
	v_mov_b32_e32 v6, s22
	s_waitcnt lgkmcnt(0)
	s_and_b32 s24, s0, 0xffff
	s_lshl_b32 s26, s24, 1
	v_mov_b32_e32 v7, s20
	v_mov_b32_e32 v8, s21
	;; [unrolled: 1-line block ×3, first 2 shown]
.LBB0_11:                               ; =>This Inner Loop Header: Depth=1
	v_ashrrev_i32_e32 v2, 31, v1
	v_lshlrev_b64 v[9:10], 2, v[1:2]
	v_ashrrev_i32_e32 v4, 31, v3
	v_add_co_u32_e32 v11, vcc, s23, v9
	v_addc_co_u32_e32 v12, vcc, v5, v10, vcc
	global_load_dwordx2 v[11:12], v[11:12], off
	v_add_co_u32_e32 v9, vcc, s15, v9
	v_addc_co_u32_e32 v10, vcc, v6, v10, vcc
	global_load_dword v2, v[9:10], off
	v_lshlrev_b64 v[9:10], 2, v[3:4]
	v_add_u32_e32 v3, s24, v3
	v_add_co_u32_e64 v13, s[0:1], s18, v9
	v_cmp_le_i32_e32 vcc, s25, v3
	v_addc_co_u32_e64 v14, s[0:1], v7, v10, s[0:1]
	v_add_co_u32_e64 v9, s[0:1], s19, v9
	s_or_b64 s[8:9], vcc, s[8:9]
	v_add_u32_e32 v1, s26, v1
	v_addc_co_u32_e64 v10, s[0:1], v8, v10, s[0:1]
	s_waitcnt vmcnt(1)
	v_add_u32_e32 v4, v12, v11
	global_store_dword v[13:14], v4, off
	s_waitcnt vmcnt(1)
	global_store_dword v[9:10], v2, off
	s_andn2_b64 exec, exec, s[8:9]
	s_cbranch_execnz .LBB0_11
.LBB0_12:
	s_or_b64 exec, exec, s[6:7]
	v_cmp_gt_i32_e32 vcc, s10, v0
	s_waitcnt vmcnt(0)
	s_barrier
	s_and_saveexec_b64 s[6:7], vcc
	s_cbranch_execz .LBB0_15
; %bb.13:
	s_mul_i32 s1, s10, 28
	s_mul_hi_i32 s0, s10, 28
	s_add_u32 s15, s15, s1
	s_addc_u32 s0, s22, s0
	s_load_dword s1, s[4:5], 0x24
	s_sub_u32 s2, 0, s2
	s_subb_u32 s3, 0, s3
	s_add_u32 s22, s15, s2
	s_addc_u32 s2, s0, s3
	s_mov_b64 s[8:9], 0
	s_waitcnt lgkmcnt(0)
	s_and_b32 s23, s1, 0xffff
	v_mov_b32_e32 v3, s17
	v_mov_b32_e32 v4, s20
	;; [unrolled: 1-line block ×9, first 2 shown]
.LBB0_14:                               ; =>This Inner Loop Header: Depth=1
	v_ashrrev_i32_e32 v2, 31, v1
	v_lshlrev_b64 v[11:12], 2, v[1:2]
	v_add_u32_e32 v1, s23, v1
	v_add_co_u32_e64 v13, s[0:1], s16, v11
	v_addc_co_u32_e64 v14, s[0:1], v3, v12, s[0:1]
	global_load_dword v2, v[13:14], off
	s_waitcnt vmcnt(0)
	v_lshrrev_b32_e32 v13, 31, v2
	v_add_u32_e32 v2, v2, v13
	v_ashrrev_i32_e32 v13, 1, v2
	v_ashrrev_i32_e32 v14, 31, v13
	v_lshlrev_b64 v[13:14], 2, v[13:14]
	v_add_co_u32_e64 v15, s[0:1], s18, v13
	v_addc_co_u32_e64 v16, s[0:1], v4, v14, s[0:1]
	global_load_dword v2, v[15:16], off
	v_add_co_u32_e64 v15, s[0:1], s12, v11
	v_addc_co_u32_e64 v16, s[0:1], v5, v12, s[0:1]
	v_add_co_u32_e64 v13, s[0:1], s19, v13
	v_addc_co_u32_e64 v14, s[0:1], v6, v14, s[0:1]
	v_cmp_le_i32_e64 s[0:1], s10, v1
	s_or_b64 s[8:9], s[0:1], s[8:9]
	s_waitcnt vmcnt(0)
	global_store_dword v[15:16], v2, off
	global_load_dword v2, v[13:14], off
	v_add_co_u32_e64 v13, s[2:3], s11, v11
	v_addc_co_u32_e64 v14, s[2:3], v7, v12, s[2:3]
	v_add_co_u32_e64 v15, s[2:3], s15, v11
	v_addc_co_u32_e64 v16, s[2:3], v8, v12, s[2:3]
	;; [unrolled: 2-line block ×3, first 2 shown]
	s_waitcnt vmcnt(0)
	global_store_dword v[13:14], v2, off
	global_store_dword v[15:16], v9, off
	;; [unrolled: 1-line block ×3, first 2 shown]
	s_andn2_b64 exec, exec, s[8:9]
	s_cbranch_execnz .LBB0_14
.LBB0_15:
	s_or_b64 exec, exec, s[6:7]
	s_waitcnt vmcnt(0)
	s_barrier
	s_and_saveexec_b64 s[0:1], vcc
	s_cbranch_execz .LBB0_18
; %bb.16:
	s_load_dword s2, s[4:5], 0x24
	s_mov_b64 s[0:1], 0
	v_mov_b32_e32 v2, s17
	s_waitcnt lgkmcnt(0)
	s_and_b32 s2, s2, 0xffff
.LBB0_17:                               ; =>This Inner Loop Header: Depth=1
	v_ashrrev_i32_e32 v1, 31, v0
	v_lshlrev_b64 v[3:4], 2, v[0:1]
	v_add_u32_e32 v0, s2, v0
	v_add_co_u32_e32 v3, vcc, s16, v3
	v_addc_co_u32_e32 v4, vcc, v2, v4, vcc
	global_load_dword v1, v[3:4], off
	v_cmp_le_i32_e32 vcc, s10, v0
	s_or_b64 s[0:1], vcc, s[0:1]
	s_waitcnt vmcnt(0)
	v_lshrrev_b32_e32 v5, 31, v1
	v_add_u32_e32 v1, v1, v5
	v_ashrrev_i32_e32 v1, 1, v1
	global_store_dword v[3:4], v1, off
	s_andn2_b64 exec, exec, s[0:1]
	s_cbranch_execnz .LBB0_17
.LBB0_18:
	s_endpgm
	.section	.rodata,"a",@progbits
	.p2align	6, 0x0
	.amdhsa_kernel _ZN9rocsolver6v33100L19stedc_update_splitsEiiiPi
		.amdhsa_group_segment_fixed_size 0
		.amdhsa_private_segment_fixed_size 0
		.amdhsa_kernarg_size 280
		.amdhsa_user_sgpr_count 6
		.amdhsa_user_sgpr_private_segment_buffer 1
		.amdhsa_user_sgpr_dispatch_ptr 0
		.amdhsa_user_sgpr_queue_ptr 0
		.amdhsa_user_sgpr_kernarg_segment_ptr 1
		.amdhsa_user_sgpr_dispatch_id 0
		.amdhsa_user_sgpr_flat_scratch_init 0
		.amdhsa_user_sgpr_private_segment_size 0
		.amdhsa_uses_dynamic_stack 0
		.amdhsa_system_sgpr_private_segment_wavefront_offset 0
		.amdhsa_system_sgpr_workgroup_id_x 1
		.amdhsa_system_sgpr_workgroup_id_y 1
		.amdhsa_system_sgpr_workgroup_id_z 0
		.amdhsa_system_sgpr_workgroup_info 0
		.amdhsa_system_vgpr_workitem_id 0
		.amdhsa_next_free_vgpr 17
		.amdhsa_next_free_sgpr 27
		.amdhsa_reserve_vcc 1
		.amdhsa_reserve_flat_scratch 0
		.amdhsa_float_round_mode_32 0
		.amdhsa_float_round_mode_16_64 0
		.amdhsa_float_denorm_mode_32 3
		.amdhsa_float_denorm_mode_16_64 3
		.amdhsa_dx10_clamp 1
		.amdhsa_ieee_mode 1
		.amdhsa_fp16_overflow 0
		.amdhsa_exception_fp_ieee_invalid_op 0
		.amdhsa_exception_fp_denorm_src 0
		.amdhsa_exception_fp_ieee_div_zero 0
		.amdhsa_exception_fp_ieee_overflow 0
		.amdhsa_exception_fp_ieee_underflow 0
		.amdhsa_exception_fp_ieee_inexact 0
		.amdhsa_exception_int_div_zero 0
	.end_amdhsa_kernel
	.section	.text._ZN9rocsolver6v33100L19stedc_update_splitsEiiiPi,"axG",@progbits,_ZN9rocsolver6v33100L19stedc_update_splitsEiiiPi,comdat
.Lfunc_end0:
	.size	_ZN9rocsolver6v33100L19stedc_update_splitsEiiiPi, .Lfunc_end0-_ZN9rocsolver6v33100L19stedc_update_splitsEiiiPi
                                        ; -- End function
	.set _ZN9rocsolver6v33100L19stedc_update_splitsEiiiPi.num_vgpr, 17
	.set _ZN9rocsolver6v33100L19stedc_update_splitsEiiiPi.num_agpr, 0
	.set _ZN9rocsolver6v33100L19stedc_update_splitsEiiiPi.numbered_sgpr, 27
	.set _ZN9rocsolver6v33100L19stedc_update_splitsEiiiPi.num_named_barrier, 0
	.set _ZN9rocsolver6v33100L19stedc_update_splitsEiiiPi.private_seg_size, 0
	.set _ZN9rocsolver6v33100L19stedc_update_splitsEiiiPi.uses_vcc, 1
	.set _ZN9rocsolver6v33100L19stedc_update_splitsEiiiPi.uses_flat_scratch, 0
	.set _ZN9rocsolver6v33100L19stedc_update_splitsEiiiPi.has_dyn_sized_stack, 0
	.set _ZN9rocsolver6v33100L19stedc_update_splitsEiiiPi.has_recursion, 0
	.set _ZN9rocsolver6v33100L19stedc_update_splitsEiiiPi.has_indirect_call, 0
	.section	.AMDGPU.csdata,"",@progbits
; Kernel info:
; codeLenInByte = 1252
; TotalNumSgprs: 31
; NumVgprs: 17
; ScratchSize: 0
; MemoryBound: 0
; FloatMode: 240
; IeeeMode: 1
; LDSByteSize: 0 bytes/workgroup (compile time only)
; SGPRBlocks: 3
; VGPRBlocks: 4
; NumSGPRsForWavesPerEU: 31
; NumVGPRsForWavesPerEU: 17
; Occupancy: 10
; WaveLimiterHint : 1
; COMPUTE_PGM_RSRC2:SCRATCH_EN: 0
; COMPUTE_PGM_RSRC2:USER_SGPR: 6
; COMPUTE_PGM_RSRC2:TRAP_HANDLER: 0
; COMPUTE_PGM_RSRC2:TGID_X_EN: 1
; COMPUTE_PGM_RSRC2:TGID_Y_EN: 1
; COMPUTE_PGM_RSRC2:TGID_Z_EN: 0
; COMPUTE_PGM_RSRC2:TIDIG_COMP_CNT: 0
	.section	.text._ZN9rocsolver6v33100L10reset_infoIiiiEEvPT_T0_T1_S4_,"axG",@progbits,_ZN9rocsolver6v33100L10reset_infoIiiiEEvPT_T0_T1_S4_,comdat
	.globl	_ZN9rocsolver6v33100L10reset_infoIiiiEEvPT_T0_T1_S4_ ; -- Begin function _ZN9rocsolver6v33100L10reset_infoIiiiEEvPT_T0_T1_S4_
	.p2align	8
	.type	_ZN9rocsolver6v33100L10reset_infoIiiiEEvPT_T0_T1_S4_,@function
_ZN9rocsolver6v33100L10reset_infoIiiiEEvPT_T0_T1_S4_: ; @_ZN9rocsolver6v33100L10reset_infoIiiiEEvPT_T0_T1_S4_
; %bb.0:
	s_load_dword s7, s[4:5], 0x24
	s_load_dwordx4 s[0:3], s[4:5], 0x8
	s_waitcnt lgkmcnt(0)
	s_and_b32 s3, s7, 0xffff
	s_mul_i32 s6, s6, s3
	v_add_u32_e32 v0, s6, v0
	v_cmp_gt_i32_e32 vcc, s0, v0
	s_and_saveexec_b64 s[6:7], vcc
	s_cbranch_execz .LBB1_2
; %bb.1:
	s_load_dwordx2 s[4:5], s[4:5], 0x0
	v_ashrrev_i32_e32 v1, 31, v0
	v_mul_lo_u32 v2, v0, s2
	v_lshlrev_b64 v[0:1], 2, v[0:1]
	s_waitcnt lgkmcnt(0)
	v_mov_b32_e32 v3, s5
	v_add_co_u32_e32 v0, vcc, s4, v0
	v_addc_co_u32_e32 v1, vcc, v3, v1, vcc
	v_add_u32_e32 v2, s1, v2
	global_store_dword v[0:1], v2, off
.LBB1_2:
	s_endpgm
	.section	.rodata,"a",@progbits
	.p2align	6, 0x0
	.amdhsa_kernel _ZN9rocsolver6v33100L10reset_infoIiiiEEvPT_T0_T1_S4_
		.amdhsa_group_segment_fixed_size 0
		.amdhsa_private_segment_fixed_size 0
		.amdhsa_kernarg_size 280
		.amdhsa_user_sgpr_count 6
		.amdhsa_user_sgpr_private_segment_buffer 1
		.amdhsa_user_sgpr_dispatch_ptr 0
		.amdhsa_user_sgpr_queue_ptr 0
		.amdhsa_user_sgpr_kernarg_segment_ptr 1
		.amdhsa_user_sgpr_dispatch_id 0
		.amdhsa_user_sgpr_flat_scratch_init 0
		.amdhsa_user_sgpr_private_segment_size 0
		.amdhsa_uses_dynamic_stack 0
		.amdhsa_system_sgpr_private_segment_wavefront_offset 0
		.amdhsa_system_sgpr_workgroup_id_x 1
		.amdhsa_system_sgpr_workgroup_id_y 0
		.amdhsa_system_sgpr_workgroup_id_z 0
		.amdhsa_system_sgpr_workgroup_info 0
		.amdhsa_system_vgpr_workitem_id 0
		.amdhsa_next_free_vgpr 4
		.amdhsa_next_free_sgpr 8
		.amdhsa_reserve_vcc 1
		.amdhsa_reserve_flat_scratch 0
		.amdhsa_float_round_mode_32 0
		.amdhsa_float_round_mode_16_64 0
		.amdhsa_float_denorm_mode_32 3
		.amdhsa_float_denorm_mode_16_64 3
		.amdhsa_dx10_clamp 1
		.amdhsa_ieee_mode 1
		.amdhsa_fp16_overflow 0
		.amdhsa_exception_fp_ieee_invalid_op 0
		.amdhsa_exception_fp_denorm_src 0
		.amdhsa_exception_fp_ieee_div_zero 0
		.amdhsa_exception_fp_ieee_overflow 0
		.amdhsa_exception_fp_ieee_underflow 0
		.amdhsa_exception_fp_ieee_inexact 0
		.amdhsa_exception_int_div_zero 0
	.end_amdhsa_kernel
	.section	.text._ZN9rocsolver6v33100L10reset_infoIiiiEEvPT_T0_T1_S4_,"axG",@progbits,_ZN9rocsolver6v33100L10reset_infoIiiiEEvPT_T0_T1_S4_,comdat
.Lfunc_end1:
	.size	_ZN9rocsolver6v33100L10reset_infoIiiiEEvPT_T0_T1_S4_, .Lfunc_end1-_ZN9rocsolver6v33100L10reset_infoIiiiEEvPT_T0_T1_S4_
                                        ; -- End function
	.set _ZN9rocsolver6v33100L10reset_infoIiiiEEvPT_T0_T1_S4_.num_vgpr, 4
	.set _ZN9rocsolver6v33100L10reset_infoIiiiEEvPT_T0_T1_S4_.num_agpr, 0
	.set _ZN9rocsolver6v33100L10reset_infoIiiiEEvPT_T0_T1_S4_.numbered_sgpr, 8
	.set _ZN9rocsolver6v33100L10reset_infoIiiiEEvPT_T0_T1_S4_.num_named_barrier, 0
	.set _ZN9rocsolver6v33100L10reset_infoIiiiEEvPT_T0_T1_S4_.private_seg_size, 0
	.set _ZN9rocsolver6v33100L10reset_infoIiiiEEvPT_T0_T1_S4_.uses_vcc, 1
	.set _ZN9rocsolver6v33100L10reset_infoIiiiEEvPT_T0_T1_S4_.uses_flat_scratch, 0
	.set _ZN9rocsolver6v33100L10reset_infoIiiiEEvPT_T0_T1_S4_.has_dyn_sized_stack, 0
	.set _ZN9rocsolver6v33100L10reset_infoIiiiEEvPT_T0_T1_S4_.has_recursion, 0
	.set _ZN9rocsolver6v33100L10reset_infoIiiiEEvPT_T0_T1_S4_.has_indirect_call, 0
	.section	.AMDGPU.csdata,"",@progbits
; Kernel info:
; codeLenInByte = 108
; TotalNumSgprs: 12
; NumVgprs: 4
; ScratchSize: 0
; MemoryBound: 0
; FloatMode: 240
; IeeeMode: 1
; LDSByteSize: 0 bytes/workgroup (compile time only)
; SGPRBlocks: 1
; VGPRBlocks: 0
; NumSGPRsForWavesPerEU: 12
; NumVGPRsForWavesPerEU: 4
; Occupancy: 10
; WaveLimiterHint : 0
; COMPUTE_PGM_RSRC2:SCRATCH_EN: 0
; COMPUTE_PGM_RSRC2:USER_SGPR: 6
; COMPUTE_PGM_RSRC2:TRAP_HANDLER: 0
; COMPUTE_PGM_RSRC2:TGID_X_EN: 1
; COMPUTE_PGM_RSRC2:TGID_Y_EN: 0
; COMPUTE_PGM_RSRC2:TGID_Z_EN: 0
; COMPUTE_PGM_RSRC2:TIDIG_COMP_CNT: 0
	.section	.text._ZN9rocsolver6v33100L16reset_batch_infoIfiiPfEEvT2_lT0_T1_,"axG",@progbits,_ZN9rocsolver6v33100L16reset_batch_infoIfiiPfEEvT2_lT0_T1_,comdat
	.globl	_ZN9rocsolver6v33100L16reset_batch_infoIfiiPfEEvT2_lT0_T1_ ; -- Begin function _ZN9rocsolver6v33100L16reset_batch_infoIfiiPfEEvT2_lT0_T1_
	.p2align	8
	.type	_ZN9rocsolver6v33100L16reset_batch_infoIfiiPfEEvT2_lT0_T1_,@function
_ZN9rocsolver6v33100L16reset_batch_infoIfiiPfEEvT2_lT0_T1_: ; @_ZN9rocsolver6v33100L16reset_batch_infoIfiiPfEEvT2_lT0_T1_
; %bb.0:
	s_load_dword s2, s[4:5], 0x24
	s_load_dwordx2 s[0:1], s[4:5], 0x10
	s_waitcnt lgkmcnt(0)
	s_and_b32 s2, s2, 0xffff
	s_mul_i32 s6, s6, s2
	v_add_u32_e32 v0, s6, v0
	v_cmp_gt_i32_e32 vcc, s0, v0
	s_and_saveexec_b64 s[2:3], vcc
	s_cbranch_execz .LBB2_2
; %bb.1:
	s_load_dwordx4 s[8:11], s[4:5], 0x0
	s_ashr_i32 s0, s7, 31
	v_ashrrev_i32_e32 v1, 31, v0
	v_lshlrev_b64 v[0:1], 2, v[0:1]
	v_cvt_f32_i32_e32 v3, s1
	s_waitcnt lgkmcnt(0)
	s_mul_hi_u32 s3, s10, s7
	s_mul_i32 s0, s10, s0
	s_mul_i32 s4, s11, s7
	s_add_i32 s0, s3, s0
	s_mul_i32 s2, s10, s7
	s_add_i32 s3, s0, s4
	s_lshl_b64 s[2:3], s[2:3], 2
	s_add_u32 s0, s8, s2
	s_addc_u32 s2, s9, s3
	v_mov_b32_e32 v2, s2
	v_add_co_u32_e32 v0, vcc, s0, v0
	v_addc_co_u32_e32 v1, vcc, v2, v1, vcc
	global_store_dword v[0:1], v3, off
.LBB2_2:
	s_endpgm
	.section	.rodata,"a",@progbits
	.p2align	6, 0x0
	.amdhsa_kernel _ZN9rocsolver6v33100L16reset_batch_infoIfiiPfEEvT2_lT0_T1_
		.amdhsa_group_segment_fixed_size 0
		.amdhsa_private_segment_fixed_size 0
		.amdhsa_kernarg_size 280
		.amdhsa_user_sgpr_count 6
		.amdhsa_user_sgpr_private_segment_buffer 1
		.amdhsa_user_sgpr_dispatch_ptr 0
		.amdhsa_user_sgpr_queue_ptr 0
		.amdhsa_user_sgpr_kernarg_segment_ptr 1
		.amdhsa_user_sgpr_dispatch_id 0
		.amdhsa_user_sgpr_flat_scratch_init 0
		.amdhsa_user_sgpr_private_segment_size 0
		.amdhsa_uses_dynamic_stack 0
		.amdhsa_system_sgpr_private_segment_wavefront_offset 0
		.amdhsa_system_sgpr_workgroup_id_x 1
		.amdhsa_system_sgpr_workgroup_id_y 1
		.amdhsa_system_sgpr_workgroup_id_z 0
		.amdhsa_system_sgpr_workgroup_info 0
		.amdhsa_system_vgpr_workitem_id 0
		.amdhsa_next_free_vgpr 4
		.amdhsa_next_free_sgpr 12
		.amdhsa_reserve_vcc 1
		.amdhsa_reserve_flat_scratch 0
		.amdhsa_float_round_mode_32 0
		.amdhsa_float_round_mode_16_64 0
		.amdhsa_float_denorm_mode_32 3
		.amdhsa_float_denorm_mode_16_64 3
		.amdhsa_dx10_clamp 1
		.amdhsa_ieee_mode 1
		.amdhsa_fp16_overflow 0
		.amdhsa_exception_fp_ieee_invalid_op 0
		.amdhsa_exception_fp_denorm_src 0
		.amdhsa_exception_fp_ieee_div_zero 0
		.amdhsa_exception_fp_ieee_overflow 0
		.amdhsa_exception_fp_ieee_underflow 0
		.amdhsa_exception_fp_ieee_inexact 0
		.amdhsa_exception_int_div_zero 0
	.end_amdhsa_kernel
	.section	.text._ZN9rocsolver6v33100L16reset_batch_infoIfiiPfEEvT2_lT0_T1_,"axG",@progbits,_ZN9rocsolver6v33100L16reset_batch_infoIfiiPfEEvT2_lT0_T1_,comdat
.Lfunc_end2:
	.size	_ZN9rocsolver6v33100L16reset_batch_infoIfiiPfEEvT2_lT0_T1_, .Lfunc_end2-_ZN9rocsolver6v33100L16reset_batch_infoIfiiPfEEvT2_lT0_T1_
                                        ; -- End function
	.set _ZN9rocsolver6v33100L16reset_batch_infoIfiiPfEEvT2_lT0_T1_.num_vgpr, 4
	.set _ZN9rocsolver6v33100L16reset_batch_infoIfiiPfEEvT2_lT0_T1_.num_agpr, 0
	.set _ZN9rocsolver6v33100L16reset_batch_infoIfiiPfEEvT2_lT0_T1_.numbered_sgpr, 12
	.set _ZN9rocsolver6v33100L16reset_batch_infoIfiiPfEEvT2_lT0_T1_.num_named_barrier, 0
	.set _ZN9rocsolver6v33100L16reset_batch_infoIfiiPfEEvT2_lT0_T1_.private_seg_size, 0
	.set _ZN9rocsolver6v33100L16reset_batch_infoIfiiPfEEvT2_lT0_T1_.uses_vcc, 1
	.set _ZN9rocsolver6v33100L16reset_batch_infoIfiiPfEEvT2_lT0_T1_.uses_flat_scratch, 0
	.set _ZN9rocsolver6v33100L16reset_batch_infoIfiiPfEEvT2_lT0_T1_.has_dyn_sized_stack, 0
	.set _ZN9rocsolver6v33100L16reset_batch_infoIfiiPfEEvT2_lT0_T1_.has_recursion, 0
	.set _ZN9rocsolver6v33100L16reset_batch_infoIfiiPfEEvT2_lT0_T1_.has_indirect_call, 0
	.section	.AMDGPU.csdata,"",@progbits
; Kernel info:
; codeLenInByte = 140
; TotalNumSgprs: 16
; NumVgprs: 4
; ScratchSize: 0
; MemoryBound: 0
; FloatMode: 240
; IeeeMode: 1
; LDSByteSize: 0 bytes/workgroup (compile time only)
; SGPRBlocks: 1
; VGPRBlocks: 0
; NumSGPRsForWavesPerEU: 16
; NumVGPRsForWavesPerEU: 4
; Occupancy: 10
; WaveLimiterHint : 0
; COMPUTE_PGM_RSRC2:SCRATCH_EN: 0
; COMPUTE_PGM_RSRC2:USER_SGPR: 6
; COMPUTE_PGM_RSRC2:TRAP_HANDLER: 0
; COMPUTE_PGM_RSRC2:TGID_X_EN: 1
; COMPUTE_PGM_RSRC2:TGID_Y_EN: 1
; COMPUTE_PGM_RSRC2:TGID_Z_EN: 0
; COMPUTE_PGM_RSRC2:TIDIG_COMP_CNT: 0
	.section	.text._ZN9rocsolver6v33100L12sterf_kernelIfEEviPT_lS3_lPiS4_iS2_S2_S2_,"axG",@progbits,_ZN9rocsolver6v33100L12sterf_kernelIfEEviPT_lS3_lPiS4_iS2_S2_S2_,comdat
	.globl	_ZN9rocsolver6v33100L12sterf_kernelIfEEviPT_lS3_lPiS4_iS2_S2_S2_ ; -- Begin function _ZN9rocsolver6v33100L12sterf_kernelIfEEviPT_lS3_lPiS4_iS2_S2_S2_
	.p2align	8
	.type	_ZN9rocsolver6v33100L12sterf_kernelIfEEviPT_lS3_lPiS4_iS2_S2_S2_,@function
_ZN9rocsolver6v33100L12sterf_kernelIfEEviPT_lS3_lPiS4_iS2_S2_S2_: ; @_ZN9rocsolver6v33100L12sterf_kernelIfEEviPT_lS3_lPiS4_iS2_S2_S2_
; %bb.0:
	s_load_dwordx8 s[12:19], s[4:5], 0x8
	s_load_dword s33, s[4:5], 0x0
	s_load_dwordx4 s[20:23], s[4:5], 0x38
	s_ashr_i32 s7, s6, 31
	s_waitcnt lgkmcnt(0)
	s_mul_hi_u32 s0, s14, s6
	s_mul_i32 s1, s14, s7
	s_add_i32 s0, s0, s1
	s_mul_i32 s1, s15, s6
	s_add_i32 s1, s0, s1
	s_mul_i32 s0, s14, s6
	s_lshl_b64 s[10:11], s[0:1], 2
	s_add_u32 s54, s12, s10
	s_mul_hi_u32 s0, s18, s6
	s_mul_i32 s1, s18, s7
	s_addc_u32 s55, s13, s11
	s_add_i32 s0, s0, s1
	s_mul_i32 s1, s19, s6
	s_add_i32 s1, s0, s1
	s_mul_i32 s0, s18, s6
	s_lshl_b64 s[0:1], s[0:1], 2
	s_add_u32 s14, s16, s0
	s_addc_u32 s15, s17, s1
	s_min_i32 s2, s33, s20
	s_cmp_lt_i32 s2, 1
	s_cbranch_scc1 .LBB3_148
; %bb.1:
	s_add_i32 s56, s33, -1
	s_add_u32 s57, s16, s0
	s_addc_u32 s58, s17, s1
	s_add_u32 s59, s57, -4
	s_addc_u32 s60, s58, -1
	s_add_u32 s61, s12, s10
	s_addc_u32 s62, s13, s11
	s_add_u32 s63, s61, 4
	s_addc_u32 s64, s62, 0
	s_add_u32 s65, s57, 4
	s_mov_b32 s16, 0x667f3bcd
	v_mul_f32_e64 v0, s21, s21
	s_addc_u32 s66, s58, 0
	s_mov_b32 s67, 0
	v_mov_b32_e32 v1, 0
	s_mov_b32 s68, 0xf800000
	s_mov_b32 s69, 0x4f800000
	v_mov_b32_e32 v2, 0x260
	s_mov_b32 s17, 0x3ff6a09e
	s_mov_b32 s19, 0
	s_mov_b32 s70, 0
	s_branch .LBB3_3
.LBB3_2:                                ;   in Loop: Header=BB3_3 Depth=1
	s_andn2_b64 vcc, exec, s[8:9]
	s_cbranch_vccz .LBB3_20
.LBB3_3:                                ; =>This Loop Header: Depth=1
                                        ;     Child Loop BB3_7 Depth 2
                                        ;     Child Loop BB3_14 Depth 2
                                        ;     Child Loop BB3_31 Depth 2
                                        ;     Child Loop BB3_25 Depth 2
                                        ;     Child Loop BB3_36 Depth 2
                                        ;     Child Loop BB3_54 Depth 2
                                        ;       Child Loop BB3_56 Depth 3
                                        ;       Child Loop BB3_68 Depth 3
                                        ;     Child Loop BB3_102 Depth 2
                                        ;       Child Loop BB3_104 Depth 3
                                        ;       Child Loop BB3_117 Depth 3
                                        ;     Child Loop BB3_46 Depth 2
                                        ;     Child Loop BB3_50 Depth 2
	s_mov_b32 s18, s19
	s_cmp_lt_i32 s19, 1
	s_cbranch_scc1 .LBB3_5
; %bb.4:                                ;   in Loop: Header=BB3_3 Depth=1
	s_mov_b32 s19, s67
	s_lshl_b64 s[0:1], s[18:19], 2
	s_add_u32 s0, s14, s0
	s_addc_u32 s1, s15, s1
	global_store_dword v1, v1, s[0:1] offset:-4
.LBB3_5:                                ;   in Loop: Header=BB3_3 Depth=1
	s_ashr_i32 s19, s18, 31
	s_lshl_b64 s[26:27], s[18:19], 2
	s_add_u32 s0, s59, s26
	s_addc_u32 s1, s60, s27
	s_add_u32 s8, s63, s26
	s_addc_u32 s9, s64, s27
	s_mov_b32 s24, s18
	s_mov_b64 s[28:29], -1
	s_cmp_ge_i32 s24, s56
	s_mov_b64 s[2:3], -1
                                        ; implicit-def: $sgpr19
	s_cbranch_scc1 .LBB3_7
.LBB3_6:                                ;   in Loop: Header=BB3_3 Depth=1
	global_load_dwordx2 v[3:4], v1, s[8:9] offset:-4
	global_load_dword v5, v1, s[0:1] offset:4
	s_add_u32 s30, s0, 4
	s_addc_u32 s31, s1, 0
	s_add_i32 s19, s24, 1
	s_add_u32 s8, s8, 4
	s_mov_b64 s[28:29], 0
	s_addc_u32 s9, s9, 0
	s_waitcnt vmcnt(1)
	v_mul_f32_e64 v6, |v3|, s69
	v_cmp_lt_f32_e64 vcc, |v3|, s68
	v_mul_f32_e64 v7, |v4|, s69
	v_cndmask_b32_e64 v3, |v3|, v6, vcc
	v_cmp_lt_f32_e64 s[0:1], |v4|, s68
	v_sqrt_f32_e32 v6, v3
	v_cndmask_b32_e64 v4, |v4|, v7, s[0:1]
	v_sqrt_f32_e32 v7, v4
	v_add_u32_e32 v8, -1, v6
	v_fma_f32 v12, -v8, v6, v3
	v_add_u32_e32 v10, -1, v7
	v_add_u32_e32 v9, 1, v6
	v_fma_f32 v14, -v10, v7, v4
	v_cmp_ge_f32_e64 s[2:3], 0, v12
	v_add_u32_e32 v11, 1, v7
	v_fma_f32 v13, -v9, v6, v3
	v_cndmask_b32_e64 v6, v6, v8, s[2:3]
	v_cmp_ge_f32_e64 s[2:3], 0, v14
	v_fma_f32 v15, -v11, v7, v4
	v_cndmask_b32_e64 v7, v7, v10, s[2:3]
	v_cmp_lt_f32_e64 s[2:3], 0, v13
	v_cndmask_b32_e64 v6, v6, v9, s[2:3]
	v_cmp_lt_f32_e64 s[2:3], 0, v15
	v_cndmask_b32_e64 v7, v7, v11, s[2:3]
	v_mul_f32_e32 v8, 0x37800000, v6
	v_mul_f32_e32 v9, 0x37800000, v7
	v_cndmask_b32_e32 v6, v6, v8, vcc
	v_cmp_class_f32_e32 vcc, v3, v2
	v_cndmask_b32_e64 v7, v7, v9, s[0:1]
	v_cndmask_b32_e32 v3, v6, v3, vcc
	v_cmp_class_f32_e32 vcc, v4, v2
	v_cndmask_b32_e32 v4, v7, v4, vcc
	v_mul_f32_e32 v3, v3, v4
	v_mul_f32_e32 v3, s21, v3
	s_waitcnt vmcnt(0)
	v_cmp_le_f32_e64 s[2:3], |v5|, v3
	s_mov_b64 s[0:1], s[30:31]
.LBB3_7:                                ;   Parent Loop BB3_3 Depth=1
                                        ; =>  This Inner Loop Header: Depth=2
	s_andn2_b64 vcc, exec, s[2:3]
	s_cbranch_vccz .LBB3_9
; %bb.8:                                ;   in Loop: Header=BB3_7 Depth=2
	s_mov_b32 s24, s19
	s_mov_b64 s[28:29], -1
	s_cmp_ge_i32 s24, s56
	s_mov_b64 s[2:3], -1
                                        ; implicit-def: $sgpr19
	s_cbranch_scc0 .LBB3_6
	s_branch .LBB3_7
.LBB3_9:                                ;   in Loop: Header=BB3_3 Depth=1
	s_andn2_b64 vcc, exec, s[28:29]
	s_mov_b64 s[2:3], -1
	s_cbranch_vccnz .LBB3_16
; %bb.10:                               ;   in Loop: Header=BB3_3 Depth=1
	s_andn2_b64 vcc, exec, s[2:3]
	s_cbranch_vccz .LBB3_17
.LBB3_11:                               ;   in Loop: Header=BB3_3 Depth=1
	s_cmp_lg_u32 s24, s18
	s_mov_b64 s[2:3], -1
	s_cbranch_scc0 .LBB3_18
.LBB3_12:                               ;   in Loop: Header=BB3_3 Depth=1
	s_ashr_i32 s25, s24, 31
	s_lshl_b64 s[0:1], s[24:25], 2
	s_add_u32 s28, s54, s0
	s_addc_u32 s29, s55, s1
	global_load_dword v4, v1, s[28:29]
	s_cmp_lt_i32 s18, s24
	s_cselect_b64 s[0:1], -1, 0
	s_cmp_ge_i32 s18, s24
	s_waitcnt vmcnt(0)
	v_and_b32_e32 v3, 0x7fffffff, v4
	s_cbranch_scc1 .LBB3_15
; %bb.13:                               ;   in Loop: Header=BB3_3 Depth=1
	s_add_u32 s8, s61, s26
	s_addc_u32 s9, s62, s27
	s_add_u32 s30, s57, s26
	s_addc_u32 s31, s58, s27
	s_mov_b32 s25, s18
.LBB3_14:                               ;   Parent Loop BB3_3 Depth=1
                                        ; =>  This Inner Loop Header: Depth=2
	global_load_dword v5, v1, s[8:9]
	global_load_dword v6, v1, s[30:31]
	s_add_i32 s25, s25, 1
	s_add_u32 s8, s8, 4
	s_addc_u32 s9, s9, 0
	s_add_u32 s30, s30, 4
	s_addc_u32 s31, s31, 0
	s_cmp_lt_i32 s25, s24
	s_waitcnt vmcnt(0)
	v_max3_f32 v3, v3, |v5|, |v6|
	s_cbranch_scc1 .LBB3_14
.LBB3_15:                               ;   in Loop: Header=BB3_3 Depth=1
	v_cmp_eq_f32_e64 s[8:9], 0, v3
	s_and_b64 vcc, exec, s[8:9]
	s_mov_b64 s[8:9], -1
	s_cbranch_vccz .LBB3_2
	s_branch .LBB3_19
.LBB3_16:                               ;   in Loop: Header=BB3_3 Depth=1
	global_store_dword v1, v1, s[0:1]
	s_cbranch_execnz .LBB3_11
.LBB3_17:                               ;   in Loop: Header=BB3_3 Depth=1
	s_max_i32 s24, s18, s56
	s_add_i32 s19, s24, 1
	s_cmp_lg_u32 s24, s18
	s_mov_b64 s[2:3], -1
	s_cbranch_scc1 .LBB3_12
.LBB3_18:                               ;   in Loop: Header=BB3_3 Depth=1
                                        ; implicit-def: $sgpr28_sgpr29
                                        ; implicit-def: $vgpr4
                                        ; implicit-def: $sgpr0_sgpr1
                                        ; implicit-def: $vgpr3
	s_mov_b64 s[8:9], -1
	s_cbranch_execz .LBB3_2
.LBB3_19:                               ;   in Loop: Header=BB3_3 Depth=1
	s_cmp_ge_i32 s19, s33
	s_mov_b64 s[2:3], 0
	s_cselect_b64 s[8:9], -1, 0
	s_branch .LBB3_2
.LBB3_20:                               ;   in Loop: Header=BB3_3 Depth=1
	s_mov_b64 s[8:9], -1
	s_and_b64 vcc, exec, s[2:3]
                                        ; implicit-def: $sgpr31
	s_cbranch_vccz .LBB3_52
; %bb.21:                               ;   in Loop: Header=BB3_3 Depth=1
	v_cmp_nlt_f32_e32 vcc, s23, v3
	s_cbranch_vccz .LBB3_27
; %bb.22:                               ;   in Loop: Header=BB3_3 Depth=1
	v_cmp_gt_f32_e32 vcc, s22, v3
	s_mov_b64 s[2:3], -1
	s_cbranch_vccz .LBB3_28
; %bb.23:                               ;   in Loop: Header=BB3_3 Depth=1
	v_div_scale_f32 v5, s[2:3], s22, s22, v3
	v_div_scale_f32 v6, vcc, v3, s22, v3
	s_mov_b64 s[2:3], 0
	v_rcp_f32_e32 v7, v5
	v_fma_f32 v8, -v5, v7, 1.0
	v_fmac_f32_e32 v7, v8, v7
	v_mul_f32_e32 v8, v6, v7
	v_fma_f32 v9, -v5, v8, v6
	v_fmac_f32_e32 v8, v9, v7
	v_fma_f32 v5, -v5, v8, v6
	v_div_fmas_f32 v5, v5, v7, v8
	s_and_b64 vcc, exec, s[0:1]
	v_div_fixup_f32 v5, v5, s22, v3
	s_waitcnt vmcnt(0)
	v_mul_f32_e32 v6, v4, v5
	global_store_dword v1, v6, s[28:29]
	s_cbranch_vccz .LBB3_28
; %bb.24:                               ;   in Loop: Header=BB3_3 Depth=1
	s_add_u32 s2, s61, s26
	s_addc_u32 s3, s62, s27
	s_add_u32 s8, s57, s26
	s_addc_u32 s9, s58, s27
	s_mov_b32 s25, s18
.LBB3_25:                               ;   Parent Loop BB3_3 Depth=1
                                        ; =>  This Inner Loop Header: Depth=2
	global_load_dword v6, v1, s[2:3]
	s_add_i32 s25, s25, 1
	s_waitcnt vmcnt(0)
	v_mul_f32_e32 v6, v5, v6
	global_store_dword v1, v6, s[2:3]
	global_load_dword v6, v1, s[8:9]
	s_add_u32 s2, s2, 4
	s_addc_u32 s3, s3, 0
	s_waitcnt vmcnt(0)
	v_mul_f32_e32 v6, v5, v6
	global_store_dword v1, v6, s[8:9]
	s_add_u32 s8, s8, 4
	s_addc_u32 s9, s9, 0
	s_cmp_lt_i32 s25, s24
	s_cbranch_scc1 .LBB3_25
; %bb.26:                               ;   in Loop: Header=BB3_3 Depth=1
	s_mov_b64 s[2:3], -1
	s_branch .LBB3_33
.LBB3_27:                               ;   in Loop: Header=BB3_3 Depth=1
	s_mov_b64 s[2:3], 0
	s_and_b64 vcc, exec, s[8:9]
	s_cbranch_vccnz .LBB3_29
	s_branch .LBB3_33
.LBB3_28:                               ;   in Loop: Header=BB3_3 Depth=1
	s_branch .LBB3_33
.LBB3_29:                               ;   in Loop: Header=BB3_3 Depth=1
	v_div_scale_f32 v5, s[8:9], s23, s23, v3
	v_div_scale_f32 v6, vcc, v3, s23, v3
	v_rcp_f32_e32 v7, v5
	v_fma_f32 v8, -v5, v7, 1.0
	v_fmac_f32_e32 v7, v8, v7
	v_mul_f32_e32 v8, v6, v7
	v_fma_f32 v9, -v5, v8, v6
	v_fmac_f32_e32 v8, v9, v7
	v_fma_f32 v5, -v5, v8, v6
	v_div_fmas_f32 v5, v5, v7, v8
	s_and_b64 vcc, exec, s[0:1]
	v_div_fixup_f32 v5, v5, s23, v3
	s_waitcnt vmcnt(0)
	v_mul_f32_e32 v4, v4, v5
	global_store_dword v1, v4, s[28:29]
	s_cbranch_vccz .LBB3_33
; %bb.30:                               ;   in Loop: Header=BB3_3 Depth=1
	s_add_u32 s2, s61, s26
	s_addc_u32 s3, s62, s27
	s_add_u32 s8, s57, s26
	s_addc_u32 s9, s58, s27
	s_mov_b32 s25, s18
.LBB3_31:                               ;   Parent Loop BB3_3 Depth=1
                                        ; =>  This Inner Loop Header: Depth=2
	global_load_dword v4, v1, s[2:3]
	s_add_i32 s25, s25, 1
	s_waitcnt vmcnt(0)
	v_mul_f32_e32 v4, v5, v4
	global_store_dword v1, v4, s[2:3]
	global_load_dword v4, v1, s[8:9]
	s_add_u32 s2, s2, 4
	s_addc_u32 s3, s3, 0
	s_waitcnt vmcnt(0)
	v_mul_f32_e32 v4, v5, v4
	global_store_dword v1, v4, s[8:9]
	s_add_u32 s8, s8, 4
	s_addc_u32 s9, s9, 0
	s_cmp_ge_i32 s25, s24
	s_cbranch_scc0 .LBB3_31
; %bb.32:                               ;   in Loop: Header=BB3_3 Depth=1
	s_mov_b64 s[2:3], -1
.LBB3_33:                               ;   in Loop: Header=BB3_3 Depth=1
	s_waitcnt vmcnt(0)
	v_cndmask_b32_e64 v4, 0, 1, s[0:1]
	s_and_b64 vcc, exec, s[2:3]
	v_cmp_ne_u32_e64 s[0:1], 1, v4
	s_cbranch_vccz .LBB3_37
; %bb.34:                               ;   in Loop: Header=BB3_3 Depth=1
	s_and_b64 vcc, exec, s[0:1]
	s_cbranch_vccnz .LBB3_37
; %bb.35:                               ;   in Loop: Header=BB3_3 Depth=1
	s_add_u32 s2, s57, s26
	s_addc_u32 s3, s58, s27
	s_mov_b32 s8, s18
.LBB3_36:                               ;   Parent Loop BB3_3 Depth=1
                                        ; =>  This Inner Loop Header: Depth=2
	global_load_dword v4, v1, s[2:3]
	s_add_i32 s8, s8, 1
	s_waitcnt vmcnt(0)
	v_mul_f32_e32 v4, v4, v4
	global_store_dword v1, v4, s[2:3]
	s_add_u32 s2, s2, 4
	s_addc_u32 s3, s3, 0
	s_cmp_lt_i32 s8, s24
	s_cbranch_scc1 .LBB3_36
.LBB3_37:                               ;   in Loop: Header=BB3_3 Depth=1
	s_add_u32 s2, s54, s26
	s_addc_u32 s3, s55, s27
	global_load_dword v4, v1, s[28:29]
	global_load_dword v5, v1, s[2:3]
	s_mov_b64 s[8:9], -1
                                        ; implicit-def: $sgpr31
	s_waitcnt vmcnt(0)
	v_cmp_lt_f32_e64 s[2:3], |v4|, |v5|
	s_and_b64 s[2:3], s[2:3], exec
	s_cselect_b32 s25, s18, s24
	s_cselect_b32 s30, s24, s18
	s_cmp_lt_i32 s70, s20
	s_cselect_b64 s[2:3], -1, 0
	v_cndmask_b32_e64 v4, 0, 1, s[2:3]
	s_cmp_lt_i32 s25, s30
	v_cmp_ne_u32_e64 s[2:3], 1, v4
	s_cbranch_scc0 .LBB3_40
; %bb.38:                               ;   in Loop: Header=BB3_3 Depth=1
	s_andn2_b64 vcc, exec, s[8:9]
	s_cbranch_vccz .LBB3_42
.LBB3_39:                               ;   in Loop: Header=BB3_3 Depth=1
	v_cmp_lt_f32_e32 vcc, s23, v3
	s_andn2_b64 vcc, exec, vcc
	s_cbranch_vccz .LBB3_44
	s_branch .LBB3_47
.LBB3_40:                               ;   in Loop: Header=BB3_3 Depth=1
	s_and_b64 vcc, exec, s[2:3]
	s_mov_b32 s31, s70
	s_mov_b32 s34, s30
	s_cbranch_vccz .LBB3_54
.LBB3_41:                               ;   in Loop: Header=BB3_3 Depth=1
	s_cbranch_execnz .LBB3_39
.LBB3_42:                               ;   in Loop: Header=BB3_3 Depth=1
	s_and_b64 vcc, exec, s[2:3]
	s_cbranch_vccz .LBB3_102
.LBB3_43:                               ;   in Loop: Header=BB3_3 Depth=1
	s_mov_b32 s31, s70
	v_cmp_lt_f32_e32 vcc, s23, v3
	s_andn2_b64 vcc, exec, vcc
	s_cbranch_vccnz .LBB3_47
.LBB3_44:                               ;   in Loop: Header=BB3_3 Depth=1
	global_load_dword v5, v1, s[28:29]
	s_waitcnt vmcnt(1)
	v_div_scale_f32 v4, s[2:3], v3, v3, s23
	v_div_scale_f32 v6, vcc, s23, v3, s23
	v_rcp_f32_e32 v7, v4
	v_fma_f32 v8, -v4, v7, 1.0
	v_fmac_f32_e32 v7, v8, v7
	v_mul_f32_e32 v8, v6, v7
	v_fma_f32 v9, -v4, v8, v6
	v_fmac_f32_e32 v8, v9, v7
	v_fma_f32 v4, -v4, v8, v6
	v_div_fmas_f32 v4, v4, v7, v8
	s_and_b64 vcc, exec, s[0:1]
	v_div_fixup_f32 v4, v4, v3, s23
	s_waitcnt vmcnt(0)
	v_mul_f32_e32 v5, v4, v5
	global_store_dword v1, v5, s[28:29]
	s_cbranch_vccnz .LBB3_47
; %bb.45:                               ;   in Loop: Header=BB3_3 Depth=1
	s_add_u32 s2, s61, s26
	s_addc_u32 s3, s62, s27
	s_add_u32 s8, s57, s26
	s_addc_u32 s9, s58, s27
	s_mov_b32 s25, s18
.LBB3_46:                               ;   Parent Loop BB3_3 Depth=1
                                        ; =>  This Inner Loop Header: Depth=2
	global_load_dword v5, v1, s[2:3]
	s_add_i32 s25, s25, 1
	s_waitcnt vmcnt(0)
	v_mul_f32_e32 v5, v4, v5
	global_store_dword v1, v5, s[2:3]
	global_load_dword v5, v1, s[8:9]
	s_add_u32 s2, s2, 4
	s_addc_u32 s3, s3, 0
	s_waitcnt vmcnt(0)
	v_mul_f32_e32 v5, v4, v5
	global_store_dword v1, v5, s[8:9]
	s_add_u32 s8, s8, 4
	s_addc_u32 s9, s9, 0
	s_cmp_lt_i32 s25, s24
	s_cbranch_scc1 .LBB3_46
.LBB3_47:                               ;   in Loop: Header=BB3_3 Depth=1
	v_cmp_ngt_f32_e32 vcc, s22, v3
	s_cbranch_vccnz .LBB3_51
; %bb.48:                               ;   in Loop: Header=BB3_3 Depth=1
	global_load_dword v4, v1, s[28:29]
	v_div_scale_f32 v5, s[2:3], v3, v3, s22
	v_div_scale_f32 v6, vcc, s22, v3, s22
	v_rcp_f32_e32 v7, v5
	v_fma_f32 v8, -v5, v7, 1.0
	v_fmac_f32_e32 v7, v8, v7
	v_mul_f32_e32 v8, v6, v7
	v_fma_f32 v9, -v5, v8, v6
	v_fmac_f32_e32 v8, v9, v7
	v_fma_f32 v5, -v5, v8, v6
	v_div_fmas_f32 v5, v5, v7, v8
	s_and_b64 vcc, exec, s[0:1]
	v_div_fixup_f32 v3, v5, v3, s22
	s_waitcnt vmcnt(0)
	v_mul_f32_e32 v4, v3, v4
	global_store_dword v1, v4, s[28:29]
	s_cbranch_vccnz .LBB3_51
; %bb.49:                               ;   in Loop: Header=BB3_3 Depth=1
	s_add_u32 s0, s61, s26
	s_addc_u32 s1, s62, s27
	s_add_u32 s2, s57, s26
	s_addc_u32 s3, s58, s27
.LBB3_50:                               ;   Parent Loop BB3_3 Depth=1
                                        ; =>  This Inner Loop Header: Depth=2
	global_load_dword v4, v1, s[0:1]
	s_add_i32 s18, s18, 1
	s_waitcnt vmcnt(0)
	v_mul_f32_e32 v4, v3, v4
	global_store_dword v1, v4, s[0:1]
	global_load_dword v4, v1, s[2:3]
	s_add_u32 s0, s0, 4
	s_addc_u32 s1, s1, 0
	s_waitcnt vmcnt(0)
	v_mul_f32_e32 v4, v3, v4
	global_store_dword v1, v4, s[2:3]
	s_add_u32 s2, s2, 4
	s_addc_u32 s3, s3, 0
	s_cmp_lt_i32 s18, s24
	s_cbranch_scc1 .LBB3_50
.LBB3_51:                               ;   in Loop: Header=BB3_3 Depth=1
	s_cmp_ge_i32 s31, s20
	s_cselect_b64 s[0:1], -1, 0
	s_cmp_ge_i32 s19, s33
	s_cselect_b64 s[2:3], -1, 0
	s_or_b64 s[8:9], s[2:3], s[0:1]
.LBB3_52:                               ;   in Loop: Header=BB3_3 Depth=1
	s_and_b64 vcc, exec, s[8:9]
	s_mov_b32 s70, s31
	s_cbranch_vccz .LBB3_3
	s_branch .LBB3_148
.LBB3_53:                               ;   in Loop: Header=BB3_54 Depth=2
	s_andn2_b64 vcc, exec, s[36:37]
	s_cbranch_vccz .LBB3_41
.LBB3_54:                               ;   Parent Loop BB3_3 Depth=1
                                        ; =>  This Loop Header: Depth=2
                                        ;       Child Loop BB3_56 Depth 3
                                        ;       Child Loop BB3_68 Depth 3
	s_ashr_i32 s35, s34, 31
	s_max_i32 s40, s25, s34
	s_lshl_b64 s[42:43], s[34:35], 2
	s_add_u32 s8, s59, s42
	s_addc_u32 s9, s60, s43
	s_add_u32 s36, s63, s42
	s_addc_u32 s37, s64, s43
	s_mov_b32 s35, s34
	s_mov_b64 s[38:39], -1
	s_cmp_ge_i32 s35, s25
	s_mov_b64 s[44:45], -1
                                        ; implicit-def: $sgpr41
	s_cbranch_scc1 .LBB3_56
.LBB3_55:                               ;   in Loop: Header=BB3_54 Depth=2
	global_load_dwordx2 v[4:5], v1, s[36:37] offset:-4
	global_load_dword v6, v1, s[8:9] offset:4
	s_add_u32 s8, s8, 4
	s_addc_u32 s9, s9, 0
	s_add_i32 s41, s35, 1
	s_add_u32 s36, s36, 4
	s_mov_b64 s[38:39], 0
	s_addc_u32 s37, s37, 0
	s_waitcnt vmcnt(1)
	v_mul_f32_e32 v4, v4, v5
	v_mul_f32_e64 v4, v0, |v4|
	s_waitcnt vmcnt(0)
	v_cmp_le_f32_e64 s[44:45], |v6|, v4
.LBB3_56:                               ;   Parent Loop BB3_3 Depth=1
                                        ;     Parent Loop BB3_54 Depth=2
                                        ; =>    This Inner Loop Header: Depth=3
	s_andn2_b64 vcc, exec, s[44:45]
	s_cbranch_vccz .LBB3_58
; %bb.57:                               ;   in Loop: Header=BB3_56 Depth=3
	s_mov_b32 s35, s41
	s_mov_b64 s[38:39], -1
	s_cmp_ge_i32 s35, s25
	s_mov_b64 s[44:45], -1
                                        ; implicit-def: $sgpr41
	s_cbranch_scc0 .LBB3_55
	s_branch .LBB3_56
.LBB3_58:                               ;   in Loop: Header=BB3_54 Depth=2
	s_andn2_b64 vcc, exec, s[38:39]
	s_cbranch_vccz .LBB3_60
; %bb.59:                               ;   in Loop: Header=BB3_54 Depth=2
	s_mov_b32 s40, s35
	global_store_dword v1, v1, s[8:9]
.LBB3_60:                               ;   in Loop: Header=BB3_54 Depth=2
	s_add_i32 s8, s34, 1
	s_cmp_eq_u32 s40, s34
	s_mov_b64 s[36:37], -1
	s_cbranch_scc1 .LBB3_76
; %bb.61:                               ;   in Loop: Header=BB3_54 Depth=2
	s_add_u32 s38, s54, s42
	s_addc_u32 s39, s55, s43
	global_load_dword v4, v1, s[38:39]
	s_cmp_lg_u32 s40, s8
	s_cbranch_scc0 .LBB3_77
; %bb.62:                               ;   in Loop: Header=BB3_54 Depth=2
	s_mov_b64 s[44:45], 0
	s_cmp_lg_u32 s31, s20
	s_mov_b32 s35, s20
	s_mov_b64 s[8:9], 0
	s_cbranch_scc0 .LBB3_78
; %bb.63:                               ;   in Loop: Header=BB3_54 Depth=2
	s_add_u32 s46, s14, s42
	s_addc_u32 s47, s15, s43
	global_load_dword v5, v1, s[46:47]
	s_ashr_i32 s41, s40, 31
	s_lshl_b64 s[50:51], s[40:41], 2
	s_add_u32 s48, s54, s50
	s_addc_u32 s49, s55, s51
	global_load_dword v6, v1, s[48:49]
	global_load_dword v7, v1, s[38:39] offset:4
	s_cmp_le_i32 s40, s34
	s_waitcnt vmcnt(2)
	v_mul_f32_e32 v8, 0x4f800000, v5
	v_cmp_gt_f32_e32 vcc, s68, v5
	v_cndmask_b32_e32 v5, v5, v8, vcc
	v_sqrt_f32_e32 v8, v5
	s_waitcnt vmcnt(0)
	v_sub_f32_e32 v7, v7, v4
	v_add_u32_e32 v9, -1, v8
	v_add_u32_e32 v10, 1, v8
	v_fma_f32 v11, -v9, v8, v5
	v_fma_f32 v12, -v10, v8, v5
	v_cmp_ge_f32_e64 s[8:9], 0, v11
	v_cndmask_b32_e64 v8, v8, v9, s[8:9]
	v_cmp_lt_f32_e64 s[8:9], 0, v12
	v_cndmask_b32_e64 v8, v8, v10, s[8:9]
	v_mul_f32_e32 v9, 0x37800000, v8
	v_cndmask_b32_e32 v8, v8, v9, vcc
	v_cmp_class_f32_e32 vcc, v5, v2
	v_cndmask_b32_e32 v5, v8, v5, vcc
	v_add_f32_e32 v8, v5, v5
	v_div_scale_f32 v9, s[8:9], v8, v8, v7
	v_div_scale_f32 v10, vcc, v7, v8, v7
	v_rcp_f32_e32 v11, v9
	v_fma_f32 v12, -v9, v11, 1.0
	v_fmac_f32_e32 v11, v12, v11
	v_mul_f32_e32 v12, v10, v11
	v_fma_f32 v13, -v9, v12, v10
	v_fmac_f32_e32 v12, v13, v11
	v_fma_f32 v9, -v9, v12, v10
	v_div_fmas_f32 v9, v9, v11, v12
	v_div_fixup_f32 v7, v9, v8, v7
	v_fma_f32 v8, v7, v7, 1.0
	v_mul_f32_e32 v9, 0x4f800000, v8
	v_cmp_gt_f32_e32 vcc, s68, v8
	v_cndmask_b32_e32 v8, v8, v9, vcc
	v_sqrt_f32_e32 v9, v8
	v_add_u32_e32 v10, -1, v9
	v_add_u32_e32 v11, 1, v9
	v_fma_f32 v12, -v10, v9, v8
	v_fma_f32 v13, -v11, v9, v8
	v_cmp_ge_f32_e64 s[8:9], 0, v12
	v_cndmask_b32_e64 v9, v9, v10, s[8:9]
	v_cmp_lt_f32_e64 s[8:9], 0, v13
	v_cndmask_b32_e64 v9, v9, v11, s[8:9]
	v_mul_f32_e32 v10, 0x37800000, v9
	v_cndmask_b32_e32 v9, v9, v10, vcc
	v_cmp_class_f32_e32 vcc, v8, v2
	v_cndmask_b32_e32 v8, v9, v8, vcc
	v_cmp_nle_f32_e32 vcc, 0, v7
	v_cndmask_b32_e64 v8, |v8|, -|v8|, vcc
	v_add_f32_e32 v7, v7, v8
	v_div_scale_f32 v8, s[8:9], v7, v7, v5
	v_div_scale_f32 v9, vcc, v5, v7, v5
	v_rcp_f32_e32 v10, v8
	v_fma_f32 v11, -v8, v10, 1.0
	v_fmac_f32_e32 v10, v11, v10
	v_mul_f32_e32 v11, v9, v10
	v_fma_f32 v12, -v8, v11, v9
	v_fmac_f32_e32 v11, v12, v10
	v_fma_f32 v8, -v8, v11, v9
	v_div_fmas_f32 v8, v8, v10, v11
	v_div_fixup_f32 v5, v8, v7, v5
	v_sub_f32_e32 v5, v4, v5
	v_sub_f32_e32 v9, v6, v5
	v_mul_f32_e32 v8, v9, v9
	v_mov_b32_e32 v7, 0
	s_cbranch_scc1 .LBB3_98
; %bb.64:                               ;   in Loop: Header=BB3_54 Depth=2
	s_add_u32 s8, s14, s50
	s_addc_u32 s9, s15, s51
	global_load_dword v6, v1, s[8:9] offset:-4
	global_load_dword v11, v1, s[48:49] offset:-4
	s_waitcnt vmcnt(1)
	v_add_f32_e32 v7, v8, v6
	v_div_scale_f32 v10, s[8:9], v7, v7, v8
	v_div_scale_f32 v12, s[8:9], v7, v7, v6
	v_div_scale_f32 v13, vcc, v8, v7, v8
	v_div_scale_f32 v14, s[8:9], v6, v7, v6
	v_rcp_f32_e32 v15, v10
	v_rcp_f32_e32 v16, v12
	v_fma_f32 v17, -v10, v15, 1.0
	v_fmac_f32_e32 v15, v17, v15
	v_fma_f32 v18, -v12, v16, 1.0
	v_fmac_f32_e32 v16, v18, v16
	v_mul_f32_e32 v17, v13, v15
	v_mul_f32_e32 v18, v14, v16
	v_fma_f32 v19, -v10, v17, v13
	v_fma_f32 v20, -v12, v18, v14
	v_fmac_f32_e32 v17, v19, v15
	v_fmac_f32_e32 v18, v20, v16
	v_fma_f32 v10, -v10, v17, v13
	v_fma_f32 v12, -v12, v18, v14
	v_div_fmas_f32 v10, v10, v15, v17
	s_mov_b64 vcc, s[8:9]
	v_div_fmas_f32 v12, v12, v16, v18
	s_waitcnt vmcnt(0)
	v_sub_f32_e32 v13, v11, v5
	v_div_fixup_f32 v8, v10, v7, v8
	v_cmp_eq_f32_e32 vcc, 0, v8
	v_div_fixup_f32 v7, v12, v7, v6
	v_mul_f32_e32 v10, v9, v7
	v_fma_f32 v10, v8, v13, -v10
	v_sub_f32_e32 v11, v11, v10
	v_add_f32_e32 v9, v9, v11
	global_store_dword v1, v9, s[48:49]
	s_cbranch_vccnz .LBB3_66
; %bb.65:                               ;   in Loop: Header=BB3_54 Depth=2
	v_mul_f32_e32 v6, v10, v10
	v_div_scale_f32 v9, s[8:9], v8, v8, v6
	v_div_scale_f32 v11, vcc, v6, v8, v6
	v_rcp_f32_e32 v12, v9
	v_fma_f32 v13, -v9, v12, 1.0
	v_fmac_f32_e32 v12, v13, v12
	v_mul_f32_e32 v13, v11, v12
	v_fma_f32 v14, -v9, v13, v11
	v_fmac_f32_e32 v13, v14, v12
	v_fma_f32 v9, -v9, v13, v11
	v_div_fmas_f32 v9, v9, v12, v13
	v_div_fixup_f32 v6, v9, v8, v6
.LBB3_66:                               ;   in Loop: Header=BB3_54 Depth=2
	s_add_i32 s8, s40, -1
	s_cmp_le_i32 s8, s34
	s_cbranch_scc1 .LBB3_96
; %bb.67:                               ;   in Loop: Header=BB3_54 Depth=2
	s_add_i32 s8, s40, -2
	s_ashr_i32 s9, s8, 31
	s_lshl_b64 s[8:9], s[8:9], 2
	s_add_u32 s50, s63, s8
	s_addc_u32 s51, s64, s9
	s_add_u32 s52, s65, s8
	s_addc_u32 s53, s66, s9
	s_mov_b32 s35, -1
.LBB3_68:                               ;   Parent Loop BB3_3 Depth=1
                                        ;     Parent Loop BB3_54 Depth=2
                                        ; =>    This Inner Loop Header: Depth=3
	global_load_dword v11, v1, s[52:53] offset:-4
	s_add_u32 s48, s52, -4
	s_addc_u32 s49, s53, -1
	s_cmp_eq_u32 s35, 0
	s_waitcnt vmcnt(0)
	v_add_f32_e32 v9, v6, v11
	s_cbranch_scc1 .LBB3_70
; %bb.69:                               ;   in Loop: Header=BB3_68 Depth=3
	v_mul_f32_e32 v7, v7, v9
	global_store_dword v1, v7, s[52:53]
.LBB3_70:                               ;   in Loop: Header=BB3_68 Depth=3
	global_load_dword v13, v1, s[50:51] offset:-4
	v_div_scale_f32 v7, s[8:9], v9, v9, v6
	v_div_scale_f32 v12, s[8:9], v9, v9, v11
	v_div_scale_f32 v14, vcc, v6, v9, v6
	v_div_scale_f32 v15, s[8:9], v11, v9, v11
	v_rcp_f32_e32 v16, v7
	v_rcp_f32_e32 v17, v12
	v_fma_f32 v18, -v7, v16, 1.0
	v_fmac_f32_e32 v16, v18, v16
	v_fma_f32 v19, -v12, v17, 1.0
	v_fmac_f32_e32 v17, v19, v17
	v_mul_f32_e32 v18, v14, v16
	v_mul_f32_e32 v19, v15, v17
	v_fma_f32 v20, -v7, v18, v14
	v_fma_f32 v21, -v12, v19, v15
	v_fmac_f32_e32 v18, v20, v16
	v_fmac_f32_e32 v19, v21, v17
	v_fma_f32 v7, -v7, v18, v14
	v_fma_f32 v12, -v12, v19, v15
	v_div_fmas_f32 v7, v7, v16, v18
	s_mov_b64 vcc, s[8:9]
	v_div_fmas_f32 v14, v12, v17, v19
	s_add_u32 s8, s50, -4
	s_addc_u32 s9, s51, -1
	v_div_fixup_f32 v12, v7, v9, v6
	v_cmp_eq_f32_e32 vcc, 0, v12
	v_div_fixup_f32 v7, v14, v9, v11
	v_mul_f32_e32 v6, v10, v7
	s_and_b64 vcc, exec, vcc
	s_waitcnt vmcnt(0)
	v_sub_f32_e32 v9, v13, v5
	v_fma_f32 v9, v12, v9, -v6
	v_sub_f32_e32 v6, v13, v9
	v_add_f32_e32 v6, v10, v6
	global_store_dword v1, v6, s[50:51]
	s_cbranch_vccz .LBB3_75
; %bb.71:                               ;   in Loop: Header=BB3_68 Depth=3
	v_mul_f32_e32 v6, v8, v11
	s_cbranch_execnz .LBB3_73
.LBB3_72:                               ;   in Loop: Header=BB3_68 Depth=3
	v_mul_f32_e32 v6, v9, v9
	v_div_scale_f32 v8, s[50:51], v12, v12, v6
	v_div_scale_f32 v10, vcc, v6, v12, v6
	v_rcp_f32_e32 v11, v8
	v_fma_f32 v13, -v8, v11, 1.0
	v_fmac_f32_e32 v11, v13, v11
	v_mul_f32_e32 v13, v10, v11
	v_fma_f32 v14, -v8, v13, v10
	v_fmac_f32_e32 v13, v14, v11
	v_fma_f32 v8, -v8, v13, v10
	v_div_fmas_f32 v8, v8, v11, v13
	v_div_fixup_f32 v6, v8, v12, v6
.LBB3_73:                               ;   in Loop: Header=BB3_68 Depth=3
	s_add_i32 s35, s35, -1
	s_add_i32 s41, s40, s35
	s_cmp_le_i32 s41, s34
	s_cbranch_scc1 .LBB3_97
; %bb.74:                               ;   in Loop: Header=BB3_68 Depth=3
	s_mov_b64 s[52:53], s[48:49]
	s_mov_b64 s[50:51], s[8:9]
	v_mov_b32_e32 v8, v12
	v_mov_b32_e32 v10, v9
	s_branch .LBB3_68
.LBB3_75:                               ;   in Loop: Header=BB3_68 Depth=3
                                        ; implicit-def: $vgpr6
	s_branch .LBB3_72
.LBB3_76:                               ;   in Loop: Header=BB3_54 Depth=2
	s_mov_b32 s34, s8
	s_cbranch_execz .LBB3_53
	s_branch .LBB3_100
.LBB3_77:                               ;   in Loop: Header=BB3_54 Depth=2
	s_mov_b64 s[44:45], -1
	s_mov_b64 s[8:9], 0
                                        ; implicit-def: $sgpr35
.LBB3_78:                               ;   in Loop: Header=BB3_54 Depth=2
	s_and_b64 vcc, exec, s[44:45]
	s_cbranch_vccz .LBB3_99
.LBB3_79:                               ;   in Loop: Header=BB3_54 Depth=2
	s_add_u32 s42, s14, s42
	s_addc_u32 s43, s15, s43
	global_load_dword v5, v1, s[42:43]
	s_ashr_i32 s41, s40, 31
	s_lshl_b64 s[8:9], s[40:41], 2
	s_add_u32 s40, s54, s8
	s_addc_u32 s41, s55, s9
	global_load_dword v7, v1, s[40:41]
	s_waitcnt vmcnt(1)
	v_mul_f32_e32 v6, 0x4f800000, v5
	v_cmp_gt_f32_e32 vcc, s68, v5
	v_cndmask_b32_e32 v5, v5, v6, vcc
	v_sqrt_f32_e32 v6, v5
	s_waitcnt vmcnt(0)
	v_sub_f32_e32 v8, v4, v7
	v_add_u32_e32 v9, -1, v6
	v_add_u32_e32 v10, 1, v6
	v_fma_f32 v11, -v9, v6, v5
	v_fma_f32 v12, -v10, v6, v5
	v_cmp_ge_f32_e64 s[8:9], 0, v11
	v_cndmask_b32_e64 v6, v6, v9, s[8:9]
	v_cmp_lt_f32_e64 s[8:9], 0, v12
	v_cndmask_b32_e64 v6, v6, v10, s[8:9]
	v_mul_f32_e32 v9, 0x37800000, v6
	v_cndmask_b32_e32 v6, v6, v9, vcc
	v_cmp_class_f32_e32 vcc, v5, v2
	v_cndmask_b32_e32 v5, v6, v5, vcc
	v_add_f32_e32 v9, v5, v5
	v_cmp_ngt_f32_e64 s[8:9], |v8|, |v9|
	v_and_b32_e32 v10, 0x7fffffff, v9
	s_and_b64 vcc, exec, s[8:9]
	s_cbranch_vccz .LBB3_82
; %bb.80:                               ;   in Loop: Header=BB3_54 Depth=2
	v_cmp_nlt_f32_e64 s[8:9], |v8|, |v9|
	s_and_b64 vcc, exec, s[8:9]
	s_cbranch_vccz .LBB3_83
; %bb.81:                               ;   in Loop: Header=BB3_54 Depth=2
	v_cvt_f64_f32_e32 v[11:12], v10
	v_mul_f64 v[11:12], v[11:12], s[16:17]
	v_cvt_f32_f64_e32 v6, v[11:12]
	s_cbranch_execz .LBB3_84
	s_branch .LBB3_85
.LBB3_82:                               ;   in Loop: Header=BB3_54 Depth=2
                                        ; implicit-def: $vgpr6
	s_branch .LBB3_86
.LBB3_83:                               ;   in Loop: Header=BB3_54 Depth=2
                                        ; implicit-def: $vgpr6
.LBB3_84:                               ;   in Loop: Header=BB3_54 Depth=2
	v_and_b32_e32 v6, 0x7fffffff, v8
	v_div_scale_f32 v11, s[8:9], v10, v10, v6
	v_div_scale_f32 v6, vcc, v6, v10, v6
	v_rcp_f32_e32 v12, v11
	v_fma_f32 v13, -v11, v12, 1.0
	v_fmac_f32_e32 v12, v13, v12
	v_mul_f32_e32 v13, v6, v12
	v_fma_f32 v14, -v11, v13, v6
	v_fmac_f32_e32 v13, v14, v12
	v_fma_f32 v6, -v11, v13, v6
	v_div_fmas_f32 v6, v6, v12, v13
	v_div_fixup_f32 v6, v6, |v9|, |v8|
	v_fma_f32 v6, v6, v6, 1.0
	v_mul_f32_e32 v11, 0x4f800000, v6
	v_cmp_gt_f32_e32 vcc, s68, v6
	v_cndmask_b32_e32 v6, v6, v11, vcc
	v_sqrt_f32_e32 v11, v6
	v_add_u32_e32 v12, -1, v11
	v_add_u32_e32 v13, 1, v11
	v_fma_f32 v14, -v12, v11, v6
	v_fma_f32 v15, -v13, v11, v6
	v_cmp_ge_f32_e64 s[8:9], 0, v14
	v_cndmask_b32_e64 v11, v11, v12, s[8:9]
	v_cmp_lt_f32_e64 s[8:9], 0, v15
	v_cndmask_b32_e64 v11, v11, v13, s[8:9]
	v_mul_f32_e32 v12, 0x37800000, v11
	v_cndmask_b32_e32 v11, v11, v12, vcc
	v_cmp_class_f32_e32 vcc, v6, v2
	v_cndmask_b32_e32 v6, v11, v6, vcc
	v_mul_f32_e64 v6, |v9|, v6
.LBB3_85:                               ;   in Loop: Header=BB3_54 Depth=2
	s_cbranch_execnz .LBB3_87
.LBB3_86:                               ;   in Loop: Header=BB3_54 Depth=2
	v_and_b32_e32 v6, 0x7fffffff, v8
	v_div_scale_f32 v11, s[8:9], v6, v6, v10
	v_div_scale_f32 v6, vcc, v10, v6, v10
	v_rcp_f32_e32 v10, v11
	v_fma_f32 v12, -v11, v10, 1.0
	v_fmac_f32_e32 v10, v12, v10
	v_mul_f32_e32 v12, v6, v10
	v_fma_f32 v13, -v11, v12, v6
	v_fmac_f32_e32 v12, v13, v10
	v_fma_f32 v6, -v11, v12, v6
	v_div_fmas_f32 v6, v6, v10, v12
	v_div_fixup_f32 v6, v6, |v8|, |v9|
	v_fma_f32 v6, v6, v6, 1.0
	v_mul_f32_e32 v9, 0x4f800000, v6
	v_cmp_gt_f32_e32 vcc, s68, v6
	v_cndmask_b32_e32 v6, v6, v9, vcc
	v_sqrt_f32_e32 v9, v6
	v_add_u32_e32 v10, -1, v9
	v_add_u32_e32 v11, 1, v9
	v_fma_f32 v12, -v10, v9, v6
	v_fma_f32 v13, -v11, v9, v6
	v_cmp_ge_f32_e64 s[8:9], 0, v12
	v_cndmask_b32_e64 v9, v9, v10, s[8:9]
	v_cmp_lt_f32_e64 s[8:9], 0, v13
	v_cndmask_b32_e64 v9, v9, v11, s[8:9]
	v_mul_f32_e32 v10, 0x37800000, v9
	v_cndmask_b32_e32 v9, v9, v10, vcc
	v_cmp_class_f32_e32 vcc, v6, v2
	v_cndmask_b32_e32 v6, v9, v6, vcc
	v_mul_f32_e64 v6, |v8|, v6
.LBB3_87:                               ;   in Loop: Header=BB3_54 Depth=2
	v_add_f32_e32 v9, v4, v7
	v_cmp_gt_f32_e64 vcc, |v4|, |v7|
	v_cndmask_b32_e32 v8, v4, v7, vcc
	v_cndmask_b32_e32 v7, v7, v4, vcc
	v_cmp_ngt_f32_e32 vcc, 0, v9
	s_cbranch_vccz .LBB3_90
; %bb.88:                               ;   in Loop: Header=BB3_54 Depth=2
	v_cmp_nlt_f32_e32 vcc, 0, v9
	s_cbranch_vccz .LBB3_91
; %bb.89:                               ;   in Loop: Header=BB3_54 Depth=2
	v_mul_f32_e32 v4, 0.5, v6
	v_mul_f32_e32 v10, -0.5, v6
	s_cbranch_execz .LBB3_92
	s_branch .LBB3_93
.LBB3_90:                               ;   in Loop: Header=BB3_54 Depth=2
                                        ; implicit-def: $vgpr10
                                        ; implicit-def: $vgpr4
	s_branch .LBB3_94
.LBB3_91:                               ;   in Loop: Header=BB3_54 Depth=2
                                        ; implicit-def: $vgpr10
                                        ; implicit-def: $vgpr4
.LBB3_92:                               ;   in Loop: Header=BB3_54 Depth=2
	v_add_f32_e32 v4, v9, v6
	v_mul_f32_e32 v4, 0.5, v4
	v_cvt_f64_f32_e32 v[10:11], v7
	v_cvt_f64_f32_e32 v[12:13], v4
	v_div_scale_f64 v[14:15], s[8:9], v[12:13], v[12:13], v[10:11]
	v_rcp_f64_e32 v[16:17], v[14:15]
	v_fma_f64 v[18:19], -v[14:15], v[16:17], 1.0
	v_fma_f64 v[16:17], v[16:17], v[18:19], v[16:17]
	v_fma_f64 v[18:19], -v[14:15], v[16:17], 1.0
	v_fma_f64 v[16:17], v[16:17], v[18:19], v[16:17]
	v_div_scale_f64 v[18:19], vcc, v[10:11], v[12:13], v[10:11]
	v_mul_f64 v[20:21], v[18:19], v[16:17]
	v_fma_f64 v[14:15], -v[14:15], v[20:21], v[18:19]
	s_nop 1
	v_div_fmas_f64 v[14:15], v[14:15], v[16:17], v[20:21]
	v_cvt_f64_f32_e32 v[16:17], v5
	v_div_scale_f64 v[18:19], s[8:9], v[12:13], v[12:13], v[16:17]
	v_div_fixup_f64 v[10:11], v[14:15], v[12:13], v[10:11]
	v_cvt_f64_f32_e32 v[14:15], v8
	v_rcp_f64_e32 v[20:21], v[18:19]
	v_fma_f64 v[22:23], -v[18:19], v[20:21], 1.0
	v_fma_f64 v[20:21], v[20:21], v[22:23], v[20:21]
	v_fma_f64 v[22:23], -v[18:19], v[20:21], 1.0
	v_fma_f64 v[20:21], v[20:21], v[22:23], v[20:21]
	v_div_scale_f64 v[22:23], vcc, v[16:17], v[12:13], v[16:17]
	v_mul_f64 v[24:25], v[22:23], v[20:21]
	v_fma_f64 v[18:19], -v[18:19], v[24:25], v[22:23]
	s_nop 1
	v_div_fmas_f64 v[18:19], v[18:19], v[20:21], v[24:25]
	v_div_fixup_f64 v[12:13], v[18:19], v[12:13], v[16:17]
	v_mul_f64 v[12:13], v[12:13], v[16:17]
	v_fma_f64 v[10:11], v[10:11], v[14:15], -v[12:13]
	v_cvt_f32_f64_e32 v10, v[10:11]
.LBB3_93:                               ;   in Loop: Header=BB3_54 Depth=2
	s_cbranch_execnz .LBB3_95
.LBB3_94:                               ;   in Loop: Header=BB3_54 Depth=2
	v_sub_f32_e32 v4, v9, v6
	v_mul_f32_e32 v4, 0.5, v4
	v_cvt_f64_f32_e32 v[6:7], v7
	v_cvt_f64_f32_e32 v[9:10], v4
	v_div_scale_f64 v[11:12], s[8:9], v[9:10], v[9:10], v[6:7]
	v_rcp_f64_e32 v[13:14], v[11:12]
	v_fma_f64 v[15:16], -v[11:12], v[13:14], 1.0
	v_fma_f64 v[13:14], v[13:14], v[15:16], v[13:14]
	v_fma_f64 v[15:16], -v[11:12], v[13:14], 1.0
	v_fma_f64 v[13:14], v[13:14], v[15:16], v[13:14]
	v_div_scale_f64 v[15:16], vcc, v[6:7], v[9:10], v[6:7]
	v_mul_f64 v[17:18], v[15:16], v[13:14]
	v_fma_f64 v[11:12], -v[11:12], v[17:18], v[15:16]
	s_nop 1
	v_div_fmas_f64 v[11:12], v[11:12], v[13:14], v[17:18]
	v_cvt_f64_f32_e32 v[13:14], v5
	v_div_scale_f64 v[15:16], s[8:9], v[9:10], v[9:10], v[13:14]
	v_div_fixup_f64 v[6:7], v[11:12], v[9:10], v[6:7]
	v_cvt_f64_f32_e32 v[11:12], v8
	v_rcp_f64_e32 v[17:18], v[15:16]
	v_fma_f64 v[19:20], -v[15:16], v[17:18], 1.0
	v_fma_f64 v[17:18], v[17:18], v[19:20], v[17:18]
	v_fma_f64 v[19:20], -v[15:16], v[17:18], 1.0
	v_fma_f64 v[17:18], v[17:18], v[19:20], v[17:18]
	v_div_scale_f64 v[19:20], vcc, v[13:14], v[9:10], v[13:14]
	v_mul_f64 v[21:22], v[19:20], v[17:18]
	v_fma_f64 v[15:16], -v[15:16], v[21:22], v[19:20]
	s_nop 1
	v_div_fmas_f64 v[15:16], v[15:16], v[17:18], v[21:22]
	v_div_fixup_f64 v[8:9], v[15:16], v[9:10], v[13:14]
	v_mul_f64 v[8:9], v[8:9], v[13:14]
	v_fma_f64 v[5:6], v[6:7], v[11:12], -v[8:9]
	v_cvt_f32_f64_e32 v10, v[5:6]
.LBB3_95:                               ;   in Loop: Header=BB3_54 Depth=2
	global_store_dword v1, v4, s[38:39]
	global_store_dword v1, v10, s[40:41]
	;; [unrolled: 1-line block ×3, first 2 shown]
	s_add_i32 s34, s34, 2
	s_cbranch_execz .LBB3_53
	s_branch .LBB3_100
.LBB3_96:                               ;   in Loop: Header=BB3_54 Depth=2
	v_mov_b32_e32 v9, v10
.LBB3_97:                               ;   in Loop: Header=BB3_54 Depth=2
	v_mov_b32_e32 v8, v6
.LBB3_98:                               ;   in Loop: Header=BB3_54 Depth=2
	v_mul_f32_e32 v6, v7, v8
	v_add_f32_e32 v5, v5, v9
	s_add_i32 s35, s31, 1
	global_store_dword v1, v6, s[46:47]
	global_store_dword v1, v5, s[38:39]
	s_mov_b64 s[8:9], -1
	s_and_b64 vcc, exec, s[44:45]
	s_cbranch_vccnz .LBB3_79
.LBB3_99:                               ;   in Loop: Header=BB3_54 Depth=2
	s_mov_b32 s31, s35
	s_and_b64 vcc, exec, s[8:9]
	s_cbranch_vccz .LBB3_53
.LBB3_100:                              ;   in Loop: Header=BB3_54 Depth=2
	s_cmp_gt_i32 s34, s25
	s_cselect_b64 s[8:9], -1, 0
	s_cmp_ge_i32 s31, s20
	s_cselect_b64 s[36:37], -1, 0
	s_or_b64 s[36:37], s[8:9], s[36:37]
	s_branch .LBB3_53
.LBB3_101:                              ;   in Loop: Header=BB3_102 Depth=2
	s_andn2_b64 vcc, exec, s[8:9]
	s_cbranch_vccz .LBB3_43
.LBB3_102:                              ;   Parent Loop BB3_3 Depth=1
                                        ; =>  This Loop Header: Depth=2
                                        ;       Child Loop BB3_104 Depth 3
                                        ;       Child Loop BB3_117 Depth 3
	s_ashr_i32 s31, s30, 31
	s_min_i32 s36, s25, s30
	s_lshl_b64 s[2:3], s[30:31], 2
	s_add_u32 s34, s61, s2
	s_addc_u32 s35, s62, s3
	s_add_u32 s8, s65, s2
	s_addc_u32 s9, s66, s3
	s_mov_b32 s31, s30
	s_mov_b64 s[38:39], -1
	s_cmp_le_i32 s31, s25
	s_mov_b64 s[40:41], -1
                                        ; implicit-def: $sgpr37
	s_cbranch_scc1 .LBB3_104
.LBB3_103:                              ;   in Loop: Header=BB3_102 Depth=2
	global_load_dwordx2 v[4:5], v1, s[34:35] offset:-4
	global_load_dword v6, v1, s[8:9] offset:-8
	s_add_i32 s37, s31, -1
	s_add_u32 s34, s34, -4
	s_addc_u32 s35, s35, -1
	s_add_u32 s8, s8, -4
	s_mov_b64 s[38:39], 0
	s_addc_u32 s9, s9, -1
	s_waitcnt vmcnt(1)
	v_mul_f32_e32 v4, v5, v4
	v_mul_f32_e64 v4, v0, |v4|
	s_waitcnt vmcnt(0)
	v_cmp_le_f32_e64 s[40:41], |v6|, v4
.LBB3_104:                              ;   Parent Loop BB3_3 Depth=1
                                        ;     Parent Loop BB3_102 Depth=2
                                        ; =>    This Inner Loop Header: Depth=3
	s_andn2_b64 vcc, exec, s[40:41]
	s_cbranch_vccz .LBB3_106
; %bb.105:                              ;   in Loop: Header=BB3_104 Depth=3
	s_mov_b32 s31, s37
	s_mov_b64 s[38:39], -1
	s_cmp_le_i32 s31, s25
	s_mov_b64 s[40:41], -1
                                        ; implicit-def: $sgpr37
	s_cbranch_scc0 .LBB3_103
	s_branch .LBB3_104
.LBB3_106:                              ;   in Loop: Header=BB3_102 Depth=2
	s_andn2_b64 vcc, exec, s[38:39]
	s_cbranch_vccz .LBB3_108
; %bb.107:                              ;   in Loop: Header=BB3_102 Depth=2
	s_mov_b32 s36, s31
	global_store_dword v1, v1, s[8:9] offset:-4
.LBB3_108:                              ;   in Loop: Header=BB3_102 Depth=2
	s_add_i32 s31, s30, -1
	s_cmp_eq_u32 s36, s30
	s_mov_b64 s[8:9], -1
	s_cbranch_scc1 .LBB3_123
; %bb.109:                              ;   in Loop: Header=BB3_102 Depth=2
	s_add_u32 s34, s54, s2
	s_addc_u32 s35, s55, s3
	global_load_dword v4, v1, s[34:35]
	s_cmp_lg_u32 s36, s31
	s_cbranch_scc0 .LBB3_124
; %bb.110:                              ;   in Loop: Header=BB3_102 Depth=2
	s_mov_b64 s[38:39], 0
	s_cmp_lg_u32 s70, s20
	s_mov_b32 s31, s20
	s_mov_b64 s[40:41], 0
	s_cbranch_scc0 .LBB3_125
; %bb.111:                              ;   in Loop: Header=BB3_102 Depth=2
	s_add_u32 s40, s14, s2
	s_addc_u32 s41, s15, s3
	global_load_dword v5, v1, s[40:41] offset:-4
	s_ashr_i32 s37, s36, 31
	s_lshl_b64 s[44:45], s[36:37], 2
	s_add_u32 s42, s54, s44
	s_addc_u32 s43, s55, s45
	global_load_dword v6, v1, s[42:43]
	global_load_dword v7, v1, s[34:35] offset:-4
	s_cmp_ge_i32 s36, s30
	s_waitcnt vmcnt(2)
	v_mul_f32_e32 v8, 0x4f800000, v5
	v_cmp_gt_f32_e32 vcc, s68, v5
	v_cndmask_b32_e32 v5, v5, v8, vcc
	v_sqrt_f32_e32 v8, v5
	s_waitcnt vmcnt(0)
	v_sub_f32_e32 v7, v7, v4
	v_add_u32_e32 v9, -1, v8
	v_add_u32_e32 v10, 1, v8
	v_fma_f32 v11, -v9, v8, v5
	v_fma_f32 v12, -v10, v8, v5
	v_cmp_ge_f32_e64 s[2:3], 0, v11
	v_cndmask_b32_e64 v8, v8, v9, s[2:3]
	v_cmp_lt_f32_e64 s[2:3], 0, v12
	v_cndmask_b32_e64 v8, v8, v10, s[2:3]
	v_mul_f32_e32 v9, 0x37800000, v8
	v_cndmask_b32_e32 v8, v8, v9, vcc
	v_cmp_class_f32_e32 vcc, v5, v2
	v_cndmask_b32_e32 v5, v8, v5, vcc
	v_add_f32_e32 v8, v5, v5
	v_div_scale_f32 v9, s[2:3], v8, v8, v7
	v_div_scale_f32 v10, vcc, v7, v8, v7
	v_rcp_f32_e32 v11, v9
	v_fma_f32 v12, -v9, v11, 1.0
	v_fmac_f32_e32 v11, v12, v11
	v_mul_f32_e32 v12, v10, v11
	v_fma_f32 v13, -v9, v12, v10
	v_fmac_f32_e32 v12, v13, v11
	v_fma_f32 v9, -v9, v12, v10
	v_div_fmas_f32 v9, v9, v11, v12
	v_div_fixup_f32 v7, v9, v8, v7
	v_fma_f32 v8, v7, v7, 1.0
	v_mul_f32_e32 v9, 0x4f800000, v8
	v_cmp_gt_f32_e32 vcc, s68, v8
	v_cndmask_b32_e32 v8, v8, v9, vcc
	v_sqrt_f32_e32 v9, v8
	v_add_u32_e32 v10, -1, v9
	v_add_u32_e32 v11, 1, v9
	v_fma_f32 v12, -v10, v9, v8
	v_fma_f32 v13, -v11, v9, v8
	v_cmp_ge_f32_e64 s[2:3], 0, v12
	v_cndmask_b32_e64 v9, v9, v10, s[2:3]
	v_cmp_lt_f32_e64 s[2:3], 0, v13
	v_cndmask_b32_e64 v9, v9, v11, s[2:3]
	v_mul_f32_e32 v10, 0x37800000, v9
	v_cndmask_b32_e32 v9, v9, v10, vcc
	v_cmp_class_f32_e32 vcc, v8, v2
	v_cndmask_b32_e32 v8, v9, v8, vcc
	v_cmp_nle_f32_e32 vcc, 0, v7
	v_cndmask_b32_e64 v8, |v8|, -|v8|, vcc
	v_add_f32_e32 v7, v7, v8
	v_div_scale_f32 v8, s[2:3], v7, v7, v5
	v_div_scale_f32 v9, vcc, v5, v7, v5
	v_rcp_f32_e32 v10, v8
	v_fma_f32 v11, -v8, v10, 1.0
	v_fmac_f32_e32 v10, v11, v10
	v_mul_f32_e32 v11, v9, v10
	v_fma_f32 v12, -v8, v11, v9
	v_fmac_f32_e32 v11, v12, v10
	v_fma_f32 v8, -v8, v11, v9
	v_div_fmas_f32 v8, v8, v10, v11
	v_div_fixup_f32 v5, v8, v7, v5
	v_sub_f32_e32 v5, v4, v5
	v_sub_f32_e32 v8, v6, v5
	v_mul_f32_e32 v9, v8, v8
	v_mov_b32_e32 v7, 0
	s_cbranch_scc1 .LBB3_145
; %bb.112:                              ;   in Loop: Header=BB3_102 Depth=2
	s_add_u32 s2, s14, s44
	s_addc_u32 s3, s15, s45
	global_load_dword v6, v1, s[2:3]
	global_load_dword v11, v1, s[42:43] offset:4
	s_waitcnt vmcnt(1)
	v_add_f32_e32 v7, v9, v6
	v_div_scale_f32 v10, s[2:3], v7, v7, v9
	v_div_scale_f32 v12, s[2:3], v7, v7, v6
	v_div_scale_f32 v13, vcc, v9, v7, v9
	v_div_scale_f32 v14, s[2:3], v6, v7, v6
	v_rcp_f32_e32 v15, v10
	v_rcp_f32_e32 v16, v12
	v_fma_f32 v17, -v10, v15, 1.0
	v_fmac_f32_e32 v15, v17, v15
	v_fma_f32 v18, -v12, v16, 1.0
	v_fmac_f32_e32 v16, v18, v16
	v_mul_f32_e32 v17, v13, v15
	v_mul_f32_e32 v18, v14, v16
	v_fma_f32 v19, -v10, v17, v13
	v_fma_f32 v20, -v12, v18, v14
	v_fmac_f32_e32 v17, v19, v15
	v_fmac_f32_e32 v18, v20, v16
	v_fma_f32 v10, -v10, v17, v13
	v_fma_f32 v12, -v12, v18, v14
	v_div_fmas_f32 v10, v10, v15, v17
	s_mov_b64 vcc, s[2:3]
	v_div_fmas_f32 v12, v12, v16, v18
	s_waitcnt vmcnt(0)
	v_sub_f32_e32 v13, v11, v5
	v_div_fixup_f32 v9, v10, v7, v9
	v_cmp_eq_f32_e32 vcc, 0, v9
	v_div_fixup_f32 v7, v12, v7, v6
	v_mul_f32_e32 v10, v8, v7
	v_fma_f32 v10, v9, v13, -v10
	v_sub_f32_e32 v11, v11, v10
	v_add_f32_e32 v8, v8, v11
	global_store_dword v1, v8, s[42:43]
	s_cbranch_vccnz .LBB3_114
; %bb.113:                              ;   in Loop: Header=BB3_102 Depth=2
	v_mul_f32_e32 v6, v10, v10
	v_div_scale_f32 v8, s[2:3], v9, v9, v6
	v_div_scale_f32 v11, vcc, v6, v9, v6
	v_rcp_f32_e32 v12, v8
	v_fma_f32 v13, -v8, v12, 1.0
	v_fmac_f32_e32 v12, v13, v12
	v_mul_f32_e32 v13, v11, v12
	v_fma_f32 v14, -v8, v13, v11
	v_fmac_f32_e32 v13, v14, v12
	v_fma_f32 v8, -v8, v13, v11
	v_div_fmas_f32 v8, v8, v12, v13
	v_div_fixup_f32 v6, v8, v9, v6
.LBB3_114:                              ;   in Loop: Header=BB3_102 Depth=2
	s_add_i32 s2, s36, 1
	s_cmp_ge_i32 s2, s30
	s_cbranch_scc1 .LBB3_143
; %bb.115:                              ;   in Loop: Header=BB3_102 Depth=2
	s_ashr_i32 s3, s2, 31
	s_lshl_b64 s[2:3], s[2:3], 2
	s_add_u32 s42, s57, s2
	s_addc_u32 s43, s58, s3
	s_add_u32 s44, s63, s2
	s_addc_u32 s45, s64, s3
	s_mov_b32 s31, 1
	global_load_dword v11, v1, s[42:43]
	s_cmp_eq_u32 s31, 0
	s_waitcnt vmcnt(0)
	v_add_f32_e32 v8, v6, v11
	s_cbranch_scc1 .LBB3_117
.LBB3_116:                              ;   in Loop: Header=BB3_102 Depth=2
	v_mul_f32_e32 v7, v7, v8
	global_store_dword v1, v7, s[42:43] offset:-4
.LBB3_117:                              ;   Parent Loop BB3_3 Depth=1
                                        ;     Parent Loop BB3_102 Depth=2
                                        ; =>    This Inner Loop Header: Depth=3
	global_load_dword v13, v1, s[44:45]
	v_div_scale_f32 v7, s[2:3], v8, v8, v6
	v_div_scale_f32 v12, s[2:3], v8, v8, v11
	v_div_scale_f32 v14, vcc, v6, v8, v6
	v_div_scale_f32 v15, s[2:3], v11, v8, v11
	v_rcp_f32_e32 v16, v7
	v_rcp_f32_e32 v17, v12
	v_fma_f32 v18, -v7, v16, 1.0
	v_fmac_f32_e32 v16, v18, v16
	v_fma_f32 v19, -v12, v17, 1.0
	v_fmac_f32_e32 v17, v19, v17
	v_mul_f32_e32 v18, v14, v16
	v_mul_f32_e32 v19, v15, v17
	v_fma_f32 v20, -v7, v18, v14
	v_fma_f32 v21, -v12, v19, v15
	v_fmac_f32_e32 v18, v20, v16
	v_fmac_f32_e32 v19, v21, v17
	v_fma_f32 v7, -v7, v18, v14
	v_fma_f32 v12, -v12, v19, v15
	v_div_fmas_f32 v7, v7, v16, v18
	s_mov_b64 vcc, s[2:3]
	v_div_fmas_f32 v14, v12, v17, v19
	v_div_fixup_f32 v12, v7, v8, v6
	v_cmp_eq_f32_e32 vcc, 0, v12
	v_div_fixup_f32 v7, v14, v8, v11
	v_mul_f32_e32 v6, v10, v7
	s_and_b64 vcc, exec, vcc
	s_waitcnt vmcnt(0)
	v_sub_f32_e32 v8, v13, v5
	v_fma_f32 v8, v12, v8, -v6
	v_sub_f32_e32 v6, v13, v8
	v_add_f32_e32 v6, v10, v6
	global_store_dword v1, v6, s[44:45] offset:-4
	s_cbranch_vccz .LBB3_122
; %bb.118:                              ;   in Loop: Header=BB3_117 Depth=3
	v_mul_f32_e32 v6, v9, v11
	s_cbranch_execnz .LBB3_120
.LBB3_119:                              ;   in Loop: Header=BB3_117 Depth=3
	v_mul_f32_e32 v6, v8, v8
	v_div_scale_f32 v9, s[2:3], v12, v12, v6
	v_div_scale_f32 v10, vcc, v6, v12, v6
	v_rcp_f32_e32 v11, v9
	v_fma_f32 v13, -v9, v11, 1.0
	v_fmac_f32_e32 v11, v13, v11
	v_mul_f32_e32 v13, v10, v11
	v_fma_f32 v14, -v9, v13, v10
	v_fmac_f32_e32 v13, v14, v11
	v_fma_f32 v9, -v9, v13, v10
	v_div_fmas_f32 v9, v9, v11, v13
	v_div_fixup_f32 v6, v9, v12, v6
.LBB3_120:                              ;   in Loop: Header=BB3_117 Depth=3
	s_add_i32 s31, s31, 1
	s_add_i32 s2, s36, s31
	s_add_u32 s42, s42, 4
	s_addc_u32 s43, s43, 0
	s_add_u32 s44, s44, 4
	s_addc_u32 s45, s45, 0
	s_cmp_ge_i32 s2, s30
	s_cbranch_scc1 .LBB3_144
; %bb.121:                              ;   in Loop: Header=BB3_117 Depth=3
	v_mov_b32_e32 v9, v12
	v_mov_b32_e32 v10, v8
	global_load_dword v11, v1, s[42:43]
	s_cmp_eq_u32 s31, 0
	s_waitcnt vmcnt(0)
	v_add_f32_e32 v8, v6, v11
	s_cbranch_scc0 .LBB3_116
	s_branch .LBB3_117
.LBB3_122:                              ;   in Loop: Header=BB3_117 Depth=3
                                        ; implicit-def: $vgpr6
	s_branch .LBB3_119
.LBB3_123:                              ;   in Loop: Header=BB3_102 Depth=2
	s_mov_b32 s30, s31
	s_cbranch_execz .LBB3_101
	s_branch .LBB3_147
.LBB3_124:                              ;   in Loop: Header=BB3_102 Depth=2
	s_mov_b64 s[38:39], -1
	s_mov_b64 s[40:41], 0
                                        ; implicit-def: $sgpr31
.LBB3_125:                              ;   in Loop: Header=BB3_102 Depth=2
	s_and_b64 vcc, exec, s[38:39]
	s_cbranch_vccz .LBB3_146
.LBB3_126:                              ;   in Loop: Header=BB3_102 Depth=2
	s_ashr_i32 s37, s36, 31
	s_lshl_b64 s[2:3], s[36:37], 2
	s_add_u32 s36, s14, s2
	s_addc_u32 s37, s15, s3
	global_load_dword v5, v1, s[36:37]
	s_add_u32 s38, s54, s2
	s_addc_u32 s39, s55, s3
	global_load_dword v7, v1, s[38:39]
	s_waitcnt vmcnt(1)
	v_mul_f32_e32 v6, 0x4f800000, v5
	v_cmp_gt_f32_e32 vcc, s68, v5
	v_cndmask_b32_e32 v5, v5, v6, vcc
	v_sqrt_f32_e32 v6, v5
	s_waitcnt vmcnt(0)
	v_sub_f32_e32 v8, v4, v7
	v_add_u32_e32 v9, -1, v6
	v_add_u32_e32 v10, 1, v6
	v_fma_f32 v11, -v9, v6, v5
	v_fma_f32 v12, -v10, v6, v5
	v_cmp_ge_f32_e64 s[2:3], 0, v11
	v_cndmask_b32_e64 v6, v6, v9, s[2:3]
	v_cmp_lt_f32_e64 s[2:3], 0, v12
	v_cndmask_b32_e64 v6, v6, v10, s[2:3]
	v_mul_f32_e32 v9, 0x37800000, v6
	v_cndmask_b32_e32 v6, v6, v9, vcc
	v_cmp_class_f32_e32 vcc, v5, v2
	v_cndmask_b32_e32 v5, v6, v5, vcc
	v_add_f32_e32 v9, v5, v5
	v_cmp_ngt_f32_e64 s[2:3], |v8|, |v9|
	v_and_b32_e32 v10, 0x7fffffff, v9
	s_and_b64 vcc, exec, s[2:3]
	s_cbranch_vccz .LBB3_129
; %bb.127:                              ;   in Loop: Header=BB3_102 Depth=2
	v_cmp_nlt_f32_e64 s[2:3], |v8|, |v9|
	s_and_b64 vcc, exec, s[2:3]
	s_cbranch_vccz .LBB3_130
; %bb.128:                              ;   in Loop: Header=BB3_102 Depth=2
	v_cvt_f64_f32_e32 v[11:12], v10
	v_mul_f64 v[11:12], v[11:12], s[16:17]
	v_cvt_f32_f64_e32 v6, v[11:12]
	s_cbranch_execz .LBB3_131
	s_branch .LBB3_132
.LBB3_129:                              ;   in Loop: Header=BB3_102 Depth=2
                                        ; implicit-def: $vgpr6
	s_branch .LBB3_133
.LBB3_130:                              ;   in Loop: Header=BB3_102 Depth=2
                                        ; implicit-def: $vgpr6
.LBB3_131:                              ;   in Loop: Header=BB3_102 Depth=2
	v_and_b32_e32 v6, 0x7fffffff, v8
	v_div_scale_f32 v11, s[2:3], v10, v10, v6
	v_div_scale_f32 v6, vcc, v6, v10, v6
	v_rcp_f32_e32 v12, v11
	v_fma_f32 v13, -v11, v12, 1.0
	v_fmac_f32_e32 v12, v13, v12
	v_mul_f32_e32 v13, v6, v12
	v_fma_f32 v14, -v11, v13, v6
	v_fmac_f32_e32 v13, v14, v12
	v_fma_f32 v6, -v11, v13, v6
	v_div_fmas_f32 v6, v6, v12, v13
	v_div_fixup_f32 v6, v6, |v9|, |v8|
	v_fma_f32 v6, v6, v6, 1.0
	v_mul_f32_e32 v11, 0x4f800000, v6
	v_cmp_gt_f32_e32 vcc, s68, v6
	v_cndmask_b32_e32 v6, v6, v11, vcc
	v_sqrt_f32_e32 v11, v6
	v_add_u32_e32 v12, -1, v11
	v_add_u32_e32 v13, 1, v11
	v_fma_f32 v14, -v12, v11, v6
	v_fma_f32 v15, -v13, v11, v6
	v_cmp_ge_f32_e64 s[2:3], 0, v14
	v_cndmask_b32_e64 v11, v11, v12, s[2:3]
	v_cmp_lt_f32_e64 s[2:3], 0, v15
	v_cndmask_b32_e64 v11, v11, v13, s[2:3]
	v_mul_f32_e32 v12, 0x37800000, v11
	v_cndmask_b32_e32 v11, v11, v12, vcc
	v_cmp_class_f32_e32 vcc, v6, v2
	v_cndmask_b32_e32 v6, v11, v6, vcc
	v_mul_f32_e64 v6, |v9|, v6
.LBB3_132:                              ;   in Loop: Header=BB3_102 Depth=2
	s_cbranch_execnz .LBB3_134
.LBB3_133:                              ;   in Loop: Header=BB3_102 Depth=2
	v_and_b32_e32 v6, 0x7fffffff, v8
	v_div_scale_f32 v11, s[2:3], v6, v6, v10
	v_div_scale_f32 v6, vcc, v10, v6, v10
	v_rcp_f32_e32 v10, v11
	v_fma_f32 v12, -v11, v10, 1.0
	v_fmac_f32_e32 v10, v12, v10
	v_mul_f32_e32 v12, v6, v10
	v_fma_f32 v13, -v11, v12, v6
	v_fmac_f32_e32 v12, v13, v10
	v_fma_f32 v6, -v11, v12, v6
	v_div_fmas_f32 v6, v6, v10, v12
	v_div_fixup_f32 v6, v6, |v8|, |v9|
	v_fma_f32 v6, v6, v6, 1.0
	v_mul_f32_e32 v9, 0x4f800000, v6
	v_cmp_gt_f32_e32 vcc, s68, v6
	v_cndmask_b32_e32 v6, v6, v9, vcc
	v_sqrt_f32_e32 v9, v6
	v_add_u32_e32 v10, -1, v9
	v_add_u32_e32 v11, 1, v9
	v_fma_f32 v12, -v10, v9, v6
	v_fma_f32 v13, -v11, v9, v6
	v_cmp_ge_f32_e64 s[2:3], 0, v12
	v_cndmask_b32_e64 v9, v9, v10, s[2:3]
	v_cmp_lt_f32_e64 s[2:3], 0, v13
	v_cndmask_b32_e64 v9, v9, v11, s[2:3]
	v_mul_f32_e32 v10, 0x37800000, v9
	v_cndmask_b32_e32 v9, v9, v10, vcc
	v_cmp_class_f32_e32 vcc, v6, v2
	v_cndmask_b32_e32 v6, v9, v6, vcc
	v_mul_f32_e64 v6, |v8|, v6
.LBB3_134:                              ;   in Loop: Header=BB3_102 Depth=2
	v_add_f32_e32 v9, v4, v7
	v_cmp_gt_f32_e64 vcc, |v4|, |v7|
	v_cndmask_b32_e32 v8, v4, v7, vcc
	v_cndmask_b32_e32 v7, v7, v4, vcc
	v_cmp_ngt_f32_e32 vcc, 0, v9
	s_cbranch_vccz .LBB3_137
; %bb.135:                              ;   in Loop: Header=BB3_102 Depth=2
	v_cmp_nlt_f32_e32 vcc, 0, v9
	s_cbranch_vccz .LBB3_138
; %bb.136:                              ;   in Loop: Header=BB3_102 Depth=2
	v_mul_f32_e32 v4, 0.5, v6
	v_mul_f32_e32 v10, -0.5, v6
	s_cbranch_execz .LBB3_139
	s_branch .LBB3_140
.LBB3_137:                              ;   in Loop: Header=BB3_102 Depth=2
                                        ; implicit-def: $vgpr10
                                        ; implicit-def: $vgpr4
	s_branch .LBB3_141
.LBB3_138:                              ;   in Loop: Header=BB3_102 Depth=2
                                        ; implicit-def: $vgpr10
                                        ; implicit-def: $vgpr4
.LBB3_139:                              ;   in Loop: Header=BB3_102 Depth=2
	v_add_f32_e32 v4, v9, v6
	v_mul_f32_e32 v4, 0.5, v4
	v_cvt_f64_f32_e32 v[10:11], v7
	v_cvt_f64_f32_e32 v[12:13], v4
	v_div_scale_f64 v[14:15], s[2:3], v[12:13], v[12:13], v[10:11]
	v_rcp_f64_e32 v[16:17], v[14:15]
	v_fma_f64 v[18:19], -v[14:15], v[16:17], 1.0
	v_fma_f64 v[16:17], v[16:17], v[18:19], v[16:17]
	v_fma_f64 v[18:19], -v[14:15], v[16:17], 1.0
	v_fma_f64 v[16:17], v[16:17], v[18:19], v[16:17]
	v_div_scale_f64 v[18:19], vcc, v[10:11], v[12:13], v[10:11]
	v_mul_f64 v[20:21], v[18:19], v[16:17]
	v_fma_f64 v[14:15], -v[14:15], v[20:21], v[18:19]
	s_nop 1
	v_div_fmas_f64 v[14:15], v[14:15], v[16:17], v[20:21]
	v_cvt_f64_f32_e32 v[16:17], v5
	v_div_scale_f64 v[18:19], s[2:3], v[12:13], v[12:13], v[16:17]
	v_div_fixup_f64 v[10:11], v[14:15], v[12:13], v[10:11]
	v_cvt_f64_f32_e32 v[14:15], v8
	v_rcp_f64_e32 v[20:21], v[18:19]
	v_fma_f64 v[22:23], -v[18:19], v[20:21], 1.0
	v_fma_f64 v[20:21], v[20:21], v[22:23], v[20:21]
	v_fma_f64 v[22:23], -v[18:19], v[20:21], 1.0
	v_fma_f64 v[20:21], v[20:21], v[22:23], v[20:21]
	v_div_scale_f64 v[22:23], vcc, v[16:17], v[12:13], v[16:17]
	v_mul_f64 v[24:25], v[22:23], v[20:21]
	v_fma_f64 v[18:19], -v[18:19], v[24:25], v[22:23]
	s_nop 1
	v_div_fmas_f64 v[18:19], v[18:19], v[20:21], v[24:25]
	v_div_fixup_f64 v[12:13], v[18:19], v[12:13], v[16:17]
	v_mul_f64 v[12:13], v[12:13], v[16:17]
	v_fma_f64 v[10:11], v[10:11], v[14:15], -v[12:13]
	v_cvt_f32_f64_e32 v10, v[10:11]
.LBB3_140:                              ;   in Loop: Header=BB3_102 Depth=2
	s_cbranch_execnz .LBB3_142
.LBB3_141:                              ;   in Loop: Header=BB3_102 Depth=2
	v_sub_f32_e32 v4, v9, v6
	v_mul_f32_e32 v4, 0.5, v4
	v_cvt_f64_f32_e32 v[6:7], v7
	v_cvt_f64_f32_e32 v[9:10], v4
	v_div_scale_f64 v[11:12], s[2:3], v[9:10], v[9:10], v[6:7]
	v_rcp_f64_e32 v[13:14], v[11:12]
	v_fma_f64 v[15:16], -v[11:12], v[13:14], 1.0
	v_fma_f64 v[13:14], v[13:14], v[15:16], v[13:14]
	v_fma_f64 v[15:16], -v[11:12], v[13:14], 1.0
	v_fma_f64 v[13:14], v[13:14], v[15:16], v[13:14]
	v_div_scale_f64 v[15:16], vcc, v[6:7], v[9:10], v[6:7]
	v_mul_f64 v[17:18], v[15:16], v[13:14]
	v_fma_f64 v[11:12], -v[11:12], v[17:18], v[15:16]
	s_nop 1
	v_div_fmas_f64 v[11:12], v[11:12], v[13:14], v[17:18]
	v_cvt_f64_f32_e32 v[13:14], v5
	v_div_scale_f64 v[15:16], s[2:3], v[9:10], v[9:10], v[13:14]
	v_div_fixup_f64 v[6:7], v[11:12], v[9:10], v[6:7]
	v_cvt_f64_f32_e32 v[11:12], v8
	v_rcp_f64_e32 v[17:18], v[15:16]
	v_fma_f64 v[19:20], -v[15:16], v[17:18], 1.0
	v_fma_f64 v[17:18], v[17:18], v[19:20], v[17:18]
	v_fma_f64 v[19:20], -v[15:16], v[17:18], 1.0
	v_fma_f64 v[17:18], v[17:18], v[19:20], v[17:18]
	v_div_scale_f64 v[19:20], vcc, v[13:14], v[9:10], v[13:14]
	v_mul_f64 v[21:22], v[19:20], v[17:18]
	v_fma_f64 v[15:16], -v[15:16], v[21:22], v[19:20]
	s_nop 1
	v_div_fmas_f64 v[15:16], v[15:16], v[17:18], v[21:22]
	v_div_fixup_f64 v[8:9], v[15:16], v[9:10], v[13:14]
	v_mul_f64 v[8:9], v[8:9], v[13:14]
	v_fma_f64 v[5:6], v[6:7], v[11:12], -v[8:9]
	v_cvt_f32_f64_e32 v10, v[5:6]
.LBB3_142:                              ;   in Loop: Header=BB3_102 Depth=2
	global_store_dword v1, v4, s[34:35]
	global_store_dword v1, v10, s[38:39]
	;; [unrolled: 1-line block ×3, first 2 shown]
	s_add_i32 s30, s30, -2
	s_cbranch_execz .LBB3_101
	s_branch .LBB3_147
.LBB3_143:                              ;   in Loop: Header=BB3_102 Depth=2
	v_mov_b32_e32 v8, v10
.LBB3_144:                              ;   in Loop: Header=BB3_102 Depth=2
	v_mov_b32_e32 v9, v6
.LBB3_145:                              ;   in Loop: Header=BB3_102 Depth=2
	v_mul_f32_e32 v6, v9, v7
	v_add_f32_e32 v5, v5, v8
	s_add_i32 s31, s70, 1
	global_store_dword v1, v6, s[40:41] offset:-4
	global_store_dword v1, v5, s[34:35]
	s_mov_b64 s[40:41], -1
	s_and_b64 vcc, exec, s[38:39]
	s_cbranch_vccnz .LBB3_126
.LBB3_146:                              ;   in Loop: Header=BB3_102 Depth=2
	s_mov_b32 s70, s31
	s_and_b64 vcc, exec, s[40:41]
	s_cbranch_vccz .LBB3_101
.LBB3_147:                              ;   in Loop: Header=BB3_102 Depth=2
	s_cmp_lt_i32 s30, s25
	s_cselect_b64 s[2:3], -1, 0
	s_cmp_ge_i32 s70, s20
	s_cselect_b64 s[8:9], -1, 0
	s_or_b64 s[8:9], s[2:3], s[8:9]
	s_branch .LBB3_101
.LBB3_148:
	s_cmp_lt_i32 s33, 2
	s_cbranch_scc1 .LBB3_159
; %bb.149:
	s_load_dwordx2 s[0:1], s[4:5], 0x28
	s_lshl_b64 s[4:5], s[6:7], 2
	s_mov_b32 s2, 1
	v_mov_b32_e32 v0, 0
	s_waitcnt lgkmcnt(0)
	s_add_u32 s0, s0, s4
	s_addc_u32 s1, s1, s5
	s_branch .LBB3_151
.LBB3_150:                              ;   in Loop: Header=BB3_151 Depth=1
	s_add_i32 s2, s2, 1
	s_add_u32 s14, s14, 4
	s_addc_u32 s15, s15, 0
	s_cmp_lg_u32 s33, s2
	s_cbranch_scc0 .LBB3_153
.LBB3_151:                              ; =>This Inner Loop Header: Depth=1
	global_load_dword v1, v0, s[14:15]
	s_waitcnt vmcnt(0)
	v_cmp_eq_f32_e32 vcc, 0, v1
	s_cbranch_vccnz .LBB3_150
; %bb.152:                              ;   in Loop: Header=BB3_151 Depth=1
	global_load_dword v1, v0, s[0:1]
	s_waitcnt vmcnt(0)
	v_add_u32_e32 v1, 1, v1
	global_store_dword v0, v1, s[0:1]
	s_branch .LBB3_150
.LBB3_153:
	s_add_u32 s0, s12, s10
	s_addc_u32 s1, s13, s11
	s_add_u32 s0, s0, 4
	s_addc_u32 s1, s1, 0
	s_mov_b32 s2, 1
	v_mov_b32_e32 v0, 0
	s_branch .LBB3_155
.LBB3_154:                              ;   in Loop: Header=BB3_155 Depth=1
	s_add_i32 s2, s2, 1
	s_add_u32 s0, s0, 4
	s_addc_u32 s1, s1, 0
	s_cmp_lg_u32 s2, s33
	s_cbranch_scc0 .LBB3_159
.LBB3_155:                              ; =>This Loop Header: Depth=1
                                        ;     Child Loop BB3_156 Depth 2
	s_ashr_i32 s3, s2, 31
	s_add_i32 s7, s2, -1
	s_lshl_b64 s[4:5], s[2:3], 2
	s_add_u32 s4, s54, s4
	s_addc_u32 s5, s55, s5
	global_load_dword v1, v0, s[4:5] offset:-4
	s_mov_b64 s[8:9], s[0:1]
	s_mov_b32 s3, s2
	s_mov_b32 s6, s7
	s_waitcnt vmcnt(0)
	v_mov_b32_e32 v2, v1
.LBB3_156:                              ;   Parent Loop BB3_155 Depth=1
                                        ; =>  This Inner Loop Header: Depth=2
	global_load_dword v3, v0, s[8:9]
	s_waitcnt vmcnt(0)
	v_cmp_lt_f32_e32 vcc, v3, v2
	s_and_b64 s[10:11], vcc, exec
	s_cselect_b32 s6, s3, s6
	s_add_i32 s3, s3, 1
	s_add_u32 s8, s8, 4
	s_addc_u32 s9, s9, 0
	v_cndmask_b32_e32 v2, v2, v3, vcc
	s_cmp_eq_u32 s33, s3
	s_cbranch_scc0 .LBB3_156
; %bb.157:                              ;   in Loop: Header=BB3_155 Depth=1
	s_cmp_lg_u32 s6, s7
	s_cbranch_scc0 .LBB3_154
; %bb.158:                              ;   in Loop: Header=BB3_155 Depth=1
	s_ashr_i32 s7, s6, 31
	s_lshl_b64 s[6:7], s[6:7], 2
	s_add_u32 s6, s54, s6
	s_addc_u32 s7, s55, s7
	global_store_dword v0, v1, s[6:7]
	global_store_dword v0, v2, s[4:5] offset:-4
	s_branch .LBB3_154
.LBB3_159:
	s_endpgm
	.section	.rodata,"a",@progbits
	.p2align	6, 0x0
	.amdhsa_kernel _ZN9rocsolver6v33100L12sterf_kernelIfEEviPT_lS3_lPiS4_iS2_S2_S2_
		.amdhsa_group_segment_fixed_size 0
		.amdhsa_private_segment_fixed_size 0
		.amdhsa_kernarg_size 72
		.amdhsa_user_sgpr_count 6
		.amdhsa_user_sgpr_private_segment_buffer 1
		.amdhsa_user_sgpr_dispatch_ptr 0
		.amdhsa_user_sgpr_queue_ptr 0
		.amdhsa_user_sgpr_kernarg_segment_ptr 1
		.amdhsa_user_sgpr_dispatch_id 0
		.amdhsa_user_sgpr_flat_scratch_init 0
		.amdhsa_user_sgpr_private_segment_size 0
		.amdhsa_uses_dynamic_stack 0
		.amdhsa_system_sgpr_private_segment_wavefront_offset 0
		.amdhsa_system_sgpr_workgroup_id_x 1
		.amdhsa_system_sgpr_workgroup_id_y 0
		.amdhsa_system_sgpr_workgroup_id_z 0
		.amdhsa_system_sgpr_workgroup_info 0
		.amdhsa_system_vgpr_workitem_id 0
		.amdhsa_next_free_vgpr 26
		.amdhsa_next_free_sgpr 71
		.amdhsa_reserve_vcc 1
		.amdhsa_reserve_flat_scratch 0
		.amdhsa_float_round_mode_32 0
		.amdhsa_float_round_mode_16_64 0
		.amdhsa_float_denorm_mode_32 3
		.amdhsa_float_denorm_mode_16_64 3
		.amdhsa_dx10_clamp 1
		.amdhsa_ieee_mode 1
		.amdhsa_fp16_overflow 0
		.amdhsa_exception_fp_ieee_invalid_op 0
		.amdhsa_exception_fp_denorm_src 0
		.amdhsa_exception_fp_ieee_div_zero 0
		.amdhsa_exception_fp_ieee_overflow 0
		.amdhsa_exception_fp_ieee_underflow 0
		.amdhsa_exception_fp_ieee_inexact 0
		.amdhsa_exception_int_div_zero 0
	.end_amdhsa_kernel
	.section	.text._ZN9rocsolver6v33100L12sterf_kernelIfEEviPT_lS3_lPiS4_iS2_S2_S2_,"axG",@progbits,_ZN9rocsolver6v33100L12sterf_kernelIfEEviPT_lS3_lPiS4_iS2_S2_S2_,comdat
.Lfunc_end3:
	.size	_ZN9rocsolver6v33100L12sterf_kernelIfEEviPT_lS3_lPiS4_iS2_S2_S2_, .Lfunc_end3-_ZN9rocsolver6v33100L12sterf_kernelIfEEviPT_lS3_lPiS4_iS2_S2_S2_
                                        ; -- End function
	.set _ZN9rocsolver6v33100L12sterf_kernelIfEEviPT_lS3_lPiS4_iS2_S2_S2_.num_vgpr, 26
	.set _ZN9rocsolver6v33100L12sterf_kernelIfEEviPT_lS3_lPiS4_iS2_S2_S2_.num_agpr, 0
	.set _ZN9rocsolver6v33100L12sterf_kernelIfEEviPT_lS3_lPiS4_iS2_S2_S2_.numbered_sgpr, 71
	.set _ZN9rocsolver6v33100L12sterf_kernelIfEEviPT_lS3_lPiS4_iS2_S2_S2_.num_named_barrier, 0
	.set _ZN9rocsolver6v33100L12sterf_kernelIfEEviPT_lS3_lPiS4_iS2_S2_S2_.private_seg_size, 0
	.set _ZN9rocsolver6v33100L12sterf_kernelIfEEviPT_lS3_lPiS4_iS2_S2_S2_.uses_vcc, 1
	.set _ZN9rocsolver6v33100L12sterf_kernelIfEEviPT_lS3_lPiS4_iS2_S2_S2_.uses_flat_scratch, 0
	.set _ZN9rocsolver6v33100L12sterf_kernelIfEEviPT_lS3_lPiS4_iS2_S2_S2_.has_dyn_sized_stack, 0
	.set _ZN9rocsolver6v33100L12sterf_kernelIfEEviPT_lS3_lPiS4_iS2_S2_S2_.has_recursion, 0
	.set _ZN9rocsolver6v33100L12sterf_kernelIfEEviPT_lS3_lPiS4_iS2_S2_S2_.has_indirect_call, 0
	.section	.AMDGPU.csdata,"",@progbits
; Kernel info:
; codeLenInByte = 7652
; TotalNumSgprs: 75
; NumVgprs: 26
; ScratchSize: 0
; MemoryBound: 0
; FloatMode: 240
; IeeeMode: 1
; LDSByteSize: 0 bytes/workgroup (compile time only)
; SGPRBlocks: 9
; VGPRBlocks: 6
; NumSGPRsForWavesPerEU: 75
; NumVGPRsForWavesPerEU: 26
; Occupancy: 9
; WaveLimiterHint : 0
; COMPUTE_PGM_RSRC2:SCRATCH_EN: 0
; COMPUTE_PGM_RSRC2:USER_SGPR: 6
; COMPUTE_PGM_RSRC2:TRAP_HANDLER: 0
; COMPUTE_PGM_RSRC2:TGID_X_EN: 1
; COMPUTE_PGM_RSRC2:TGID_Y_EN: 0
; COMPUTE_PGM_RSRC2:TGID_Z_EN: 0
; COMPUTE_PGM_RSRC2:TIDIG_COMP_CNT: 0
	.section	.text._ZN9rocsolver6v33100L11lasr_kernelIffPfiEEv13rocblas_side_14rocblas_pivot_15rocblas_direct_T2_S6_PT0_lS8_lT1_lS6_lS6_,"axG",@progbits,_ZN9rocsolver6v33100L11lasr_kernelIffPfiEEv13rocblas_side_14rocblas_pivot_15rocblas_direct_T2_S6_PT0_lS8_lT1_lS6_lS6_,comdat
	.globl	_ZN9rocsolver6v33100L11lasr_kernelIffPfiEEv13rocblas_side_14rocblas_pivot_15rocblas_direct_T2_S6_PT0_lS8_lT1_lS6_lS6_ ; -- Begin function _ZN9rocsolver6v33100L11lasr_kernelIffPfiEEv13rocblas_side_14rocblas_pivot_15rocblas_direct_T2_S6_PT0_lS8_lT1_lS6_lS6_
	.p2align	8
	.type	_ZN9rocsolver6v33100L11lasr_kernelIffPfiEEv13rocblas_side_14rocblas_pivot_15rocblas_direct_T2_S6_PT0_lS8_lT1_lS6_lS6_,@function
_ZN9rocsolver6v33100L11lasr_kernelIffPfiEEv13rocblas_side_14rocblas_pivot_15rocblas_direct_T2_S6_PT0_lS8_lT1_lS6_lS6_: ; @_ZN9rocsolver6v33100L11lasr_kernelIffPfiEEv13rocblas_side_14rocblas_pivot_15rocblas_direct_T2_S6_PT0_lS8_lT1_lS6_lS6_
; %bb.0:
	s_load_dword s33, s[4:5], 0x58
	s_waitcnt lgkmcnt(0)
	s_cmp_ge_u32 s7, s33
	s_cbranch_scc1 .LBB4_108
; %bb.1:
	s_load_dword s24, s[4:5], 0x48
	s_load_dwordx2 s[26:27], s[4:5], 0x68
	s_load_dwordx4 s[20:23], s[4:5], 0x38
	s_load_dwordx4 s[16:19], s[4:5], 0x0
	s_load_dword s90, s[4:5], 0x10
	s_waitcnt lgkmcnt(0)
	s_ashr_i32 s25, s24, 31
	s_and_b32 s45, s27, 0xffff
	s_mul_i32 s6, s6, s45
	s_lshl_b64 s[2:3], s[22:23], 2
	v_add_u32_e32 v0, s6, v0
	s_add_u32 s6, s20, s2
	s_addc_u32 s27, s21, s3
	s_cmpk_eq_i32 s16, 0x8d
	s_cselect_b64 s[0:1], -1, 0
	s_cmpk_eq_i32 s16, 0x8e
	s_cselect_b64 s[8:9], -1, 0
	;; [unrolled: 2-line block ×7, first 2 shown]
	s_and_b64 s[22:23], s[0:1], s[10:11]
	s_and_b64 s[30:31], s[0:1], s[14:15]
	;; [unrolled: 1-line block ×5, first 2 shown]
	s_xor_b64 s[36:37], s[0:1], -1
	s_and_b64 s[0:1], s[8:9], s[10:11]
	s_and_b64 s[10:11], s[0:1], s[40:41]
	;; [unrolled: 1-line block ×3, first 2 shown]
	s_xor_b64 s[0:1], s[0:1], -1
                                        ; implicit-def: $vgpr42 : SGPR spill to VGPR lane
	s_xor_b64 s[38:39], s[10:11], -1
	v_writelane_b32 v42, s0, 0
	v_writelane_b32 v42, s1, 1
	s_and_b64 s[0:1], s[8:9], s[14:15]
	s_and_b64 s[10:11], s[0:1], s[40:41]
	s_xor_b64 s[10:11], s[10:11], -1
	v_writelane_b32 v42, s10, 2
	s_and_b64 s[0:1], s[0:1], s[42:43]
	v_writelane_b32 v42, s11, 3
	s_xor_b64 s[0:1], s[0:1], -1
	v_writelane_b32 v42, s0, 4
	s_and_b64 s[8:9], s[8:9], s[12:13]
	v_writelane_b32 v42, s1, 5
	s_and_b64 s[0:1], s[8:9], s[40:41]
	s_xor_b64 s[0:1], s[0:1], -1
	v_writelane_b32 v42, s0, 6
	v_writelane_b32 v42, s1, 7
	v_cmp_gt_i32_e64 s[0:1], s19, v0
	s_and_b64 s[10:11], s[42:43], s[0:1]
	s_and_b64 s[8:9], s[8:9], s[10:11]
	s_and_b64 s[16:17], s[22:23], s[40:41]
	s_and_b64 s[22:23], s[22:23], s[42:43]
	s_and_b64 s[28:29], s[30:31], s[40:41]
	s_and_b64 s[30:31], s[30:31], s[42:43]
	v_writelane_b32 v42, s8, 8
	s_xor_b64 s[16:17], s[16:17], -1
	s_xor_b64 s[22:23], s[22:23], -1
	;; [unrolled: 1-line block ×5, first 2 shown]
	v_writelane_b32 v42, s9, 9
	s_add_i32 s91, s90, -1
	s_add_i32 s50, s90, -2
	s_load_dwordx8 s[8:15], s[4:5], 0x18
	s_cmp_gt_i32 s90, 1
	s_cselect_b64 s[52:53], -1, 0
	s_ashr_i32 s55, s19, 31
	s_add_i32 s40, s19, -2
	s_cmp_gt_i32 s19, 1
	s_mov_b32 s51, 0
	s_cselect_b64 s[56:57], -1, 0
	s_lshl_b64 s[42:43], s[50:51], 2
	s_waitcnt lgkmcnt(0)
	s_add_u32 s18, s8, s42
	s_addc_u32 s92, s9, s43
	s_lshl_b64 s[10:11], s[10:11], 2
	s_load_dword s44, s[4:5], 0x60
	v_writelane_b32 v42, s18, 10
	s_add_u32 s93, s12, s42
	s_mul_i32 s18, s25, s50
	s_mul_hi_u32 s41, s24, s50
	s_addc_u32 s94, s13, s43
	s_add_i32 s43, s41, s18
	s_mul_i32 s42, s24, s50
	s_lshl_b64 s[42:43], s[42:43], 2
	s_lshl_b64 s[14:15], s[14:15], 2
	s_load_dwordx2 s[4:5], s[4:5], 0x50
	s_add_u32 s18, s42, s2
	s_addc_u32 s41, s43, s3
	s_add_u32 s18, s20, s18
	v_ashrrev_i32_e32 v1, 31, v0
	s_waitcnt lgkmcnt(0)
	s_mul_i32 s58, s44, s45
	s_addc_u32 s41, s21, s41
	v_lshlrev_b64 v[1:2], 2, v[0:1]
	s_ashr_i32 s59, s58, 31
	s_lshl_b64 s[60:61], s[4:5], 2
	s_lshl_b64 s[62:63], s[58:59], 2
	;; [unrolled: 1-line block ×3, first 2 shown]
	v_add_co_u32_e32 v16, vcc, s18, v1
	s_sub_u32 s59, 0, s64
	s_mul_i32 s18, s25, s91
	s_mul_hi_u32 s25, s24, s91
	s_mul_i32 s66, s24, s91
	s_subb_u32 s95, 0, s65
	s_add_i32 s43, s25, s18
	s_mov_b32 s42, s66
	s_lshl_b64 s[42:43], s[42:43], 2
	s_add_i32 s25, s90, 1
	v_mov_b32_e32 v3, s41
	s_add_u32 s18, s42, s2
	v_addc_co_u32_e32 v17, vcc, v3, v2, vcc
	s_addc_u32 s41, s43, s3
	v_mov_b32_e32 v3, s27
	v_add_co_u32_e32 v18, vcc, s6, v1
	s_add_u32 s18, s20, s18
	v_addc_co_u32_e32 v19, vcc, v3, v2, vcc
	s_addc_u32 s41, s21, s41
	v_mov_b32_e32 v3, s41
	v_add_co_u32_e32 v20, vcc, s18, v1
	s_add_u32 s18, s2, s64
	v_addc_co_u32_e32 v21, vcc, v3, v2, vcc
	s_addc_u32 s41, s3, s65
	v_mad_i64_i32 v[3:4], s[42:43], s24, v0, 0
	s_add_u32 s18, s20, s18
	s_addc_u32 s41, s21, s41
	v_mov_b32_e32 v5, s41
	v_add_co_u32_e32 v22, vcc, s18, v1
	v_addc_co_u32_e32 v23, vcc, v5, v2, vcc
	v_lshlrev_b64 v[1:2], 2, v[3:4]
	s_mov_b32 s41, s51
	v_mov_b32_e32 v3, s3
	v_add_co_u32_e32 v1, vcc, s2, v1
	s_add_i32 s50, s19, -1
	s_lshl_b64 s[2:3], s[40:41], 2
	s_add_u32 s48, s8, s2
	s_addc_u32 s49, s9, s3
	s_add_u32 s46, s12, s2
	s_addc_u32 s47, s13, s3
	s_add_u32 s2, s20, s2
	v_addc_co_u32_e32 v2, vcc, v2, v3, vcc
	s_addc_u32 s3, s21, s3
	v_mov_b32_e32 v3, s3
	v_add_co_u32_e32 v24, vcc, s2, v1
	s_mul_hi_i32 s3, s24, s58
	s_mul_i32 s2, s24, s58
	v_addc_co_u32_e32 v25, vcc, v3, v2, vcc
	s_lshl_b64 s[68:69], s[2:3], 2
	s_add_i32 s44, s19, 1
	s_lshl_b64 s[2:3], s[50:51], 2
	s_add_u32 s2, s20, s2
	v_mov_b32_e32 v3, s21
	v_add_co_u32_e32 v26, vcc, s20, v1
	s_addc_u32 s3, s21, s3
	v_addc_co_u32_e32 v27, vcc, v3, v2, vcc
	v_mov_b32_e32 v3, s3
	v_add_co_u32_e32 v28, vcc, s2, v1
	v_addc_co_u32_e32 v29, vcc, v3, v2, vcc
	v_add_co_u32_e32 v30, vcc, 4, v26
	v_addc_co_u32_e32 v31, vcc, 0, v27, vcc
	;; [unrolled: 2-line block ×3, first 2 shown]
	s_mul_hi_i32 s67, s24, s91
	s_mov_b32 s54, s19
	v_mov_b32_e32 v34, 0
	v_cmp_gt_i32_e64 s[2:3], s90, v0
	s_branch .LBB4_4
.LBB4_2:                                ;   in Loop: Header=BB4_4 Depth=1
	s_or_b64 exec, exec, s[72:73]
.LBB4_3:                                ;   in Loop: Header=BB4_4 Depth=1
	s_add_i32 s7, s7, s26
	s_cmp_ge_u32 s7, s33
	s_cbranch_scc1 .LBB4_108
.LBB4_4:                                ; =>This Loop Header: Depth=1
                                        ;     Child Loop BB4_19 Depth 2
                                        ;       Child Loop BB4_20 Depth 3
                                        ;     Child Loop BB4_26 Depth 2
                                        ;       Child Loop BB4_27 Depth 3
	;; [unrolled: 2-line block ×12, first 2 shown]
	s_mul_i32 s18, s61, s7
	s_mul_hi_u32 s20, s60, s7
	s_add_i32 s43, s20, s18
	s_mul_i32 s18, s11, s7
	s_mul_hi_u32 s20, s10, s7
	s_add_i32 s40, s20, s18
	s_mul_i32 s41, s10, s7
	s_add_u32 s20, s8, s41
	s_mul_i32 s18, s15, s7
	s_mul_hi_u32 s45, s14, s7
	s_addc_u32 s21, s9, s40
	s_add_i32 s79, s45, s18
	s_mul_i32 s78, s14, s7
	s_add_u32 s70, s12, s78
	s_mul_i32 s18, s5, s7
	s_mul_hi_u32 s45, s4, s7
	s_mul_i32 s42, s60, s7
	s_addc_u32 s71, s13, s79
	s_add_i32 s73, s45, s18
	s_mul_i32 s72, s4, s7
	v_mov_b32_e32 v2, s43
	v_add_co_u32_e32 v1, vcc, s42, v30
	s_lshl_b64 s[72:73], s[72:73], 2
	v_addc_co_u32_e32 v2, vcc, v31, v2, vcc
	s_add_u32 s45, s6, s72
	s_addc_u32 s51, s27, s73
	s_and_b64 vcc, exec, s[16:17]
	s_mov_b64 s[72:73], -1
	s_cbranch_vccnz .LBB4_6
; %bb.5:                                ;   in Loop: Header=BB4_4 Depth=1
	s_andn2_b64 vcc, exec, s[72:73]
	s_cbranch_vccnz .LBB4_3
	s_branch .LBB4_103
.LBB4_6:                                ;   in Loop: Header=BB4_4 Depth=1
	s_add_u32 s72, s48, s41
	s_addc_u32 s73, s49, s40
	s_add_u32 s74, s46, s78
	s_addc_u32 s75, s47, s79
	s_mov_b64 s[76:77], -1
	s_and_b64 vcc, exec, s[22:23]
	s_cbranch_vccz .LBB4_95
; %bb.7:                                ;   in Loop: Header=BB4_4 Depth=1
	s_and_b64 vcc, exec, s[28:29]
	s_cbranch_vccz .LBB4_87
; %bb.8:                                ;   in Loop: Header=BB4_4 Depth=1
	;; [unrolled: 3-line block ×3, first 2 shown]
	s_and_b64 vcc, exec, s[34:35]
	s_cbranch_vccz .LBB4_71
; %bb.10:                               ;   in Loop: Header=BB4_4 Depth=1
	s_and_b64 vcc, exec, s[36:37]
	s_cbranch_vccz .LBB4_63
; %bb.11:                               ;   in Loop: Header=BB4_4 Depth=1
	v_mov_b32_e32 v4, s43
	v_add_co_u32_e32 v3, vcc, s42, v18
	v_addc_co_u32_e32 v4, vcc, v19, v4, vcc
	s_and_b64 vcc, exec, s[38:39]
	s_cbranch_vccz .LBB4_55
; %bb.12:                               ;   in Loop: Header=BB4_4 Depth=1
	v_mov_b32_e32 v6, s43
	v_add_co_u32_e32 v5, vcc, s42, v20
	v_readlane_b32 s18, v42, 10
	v_addc_co_u32_e32 v6, vcc, v21, v6, vcc
	s_add_u32 s76, s18, s41
	s_addc_u32 s77, s92, s40
	v_mov_b32_e32 v8, s43
	v_add_co_u32_e32 v7, vcc, s42, v16
	v_readlane_b32 s40, v42, 0
	s_add_u32 s78, s93, s78
	v_addc_co_u32_e32 v8, vcc, v17, v8, vcc
	v_readlane_b32 s41, v42, 1
	s_addc_u32 s79, s94, s79
	s_mov_b64 s[80:81], -1
	s_and_b64 vcc, exec, s[40:41]
	s_cbranch_vccz .LBB4_46
; %bb.13:                               ;   in Loop: Header=BB4_4 Depth=1
	v_readlane_b32 s40, v42, 2
	v_readlane_b32 s41, v42, 3
	s_and_b64 vcc, exec, s[40:41]
	s_cbranch_vccz .LBB4_38
; %bb.14:                               ;   in Loop: Header=BB4_4 Depth=1
	v_readlane_b32 s40, v42, 4
	v_readlane_b32 s41, v42, 5
	;; [unrolled: 5-line block ×3, first 2 shown]
	s_and_b64 vcc, exec, s[40:41]
	s_cbranch_vccz .LBB4_22
; %bb.16:                               ;   in Loop: Header=BB4_4 Depth=1
	s_mov_b64 s[80:81], exec
	v_readlane_b32 s40, v42, 8
	v_readlane_b32 s41, v42, 9
	s_and_b64 s[40:41], s[80:81], s[40:41]
	s_mov_b64 exec, s[40:41]
	s_cbranch_execz .LBB4_21
; %bb.17:                               ;   in Loop: Header=BB4_4 Depth=1
	s_lshl_b64 s[40:41], s[66:67], 2
	s_add_u32 s40, s45, s40
	v_mov_b32_e32 v10, v8
	s_addc_u32 s41, s51, s41
	s_mov_b64 s[82:83], 0
	v_mov_b32_e32 v9, v7
	v_mov_b32_e32 v11, v0
	s_branch .LBB4_19
.LBB4_18:                               ;   in Loop: Header=BB4_19 Depth=2
	v_add_u32_e32 v11, s58, v11
	v_cmp_le_i32_e32 vcc, s19, v11
	s_waitcnt vmcnt(0)
	global_store_dword v[12:13], v35, off
	v_mov_b32_e32 v12, s63
	s_or_b64 s[82:83], vcc, s[82:83]
	v_add_co_u32_e32 v9, vcc, s62, v9
	v_addc_co_u32_e32 v10, vcc, v10, v12, vcc
	s_andn2_b64 exec, exec, s[82:83]
	s_cbranch_execz .LBB4_21
.LBB4_19:                               ;   Parent Loop BB4_4 Depth=1
                                        ; =>  This Loop Header: Depth=2
                                        ;       Child Loop BB4_20 Depth 3
	v_ashrrev_i32_e32 v12, 31, v11
	v_lshlrev_b64 v[12:13], 2, v[11:12]
	v_mov_b32_e32 v14, s41
	v_add_co_u32_e32 v12, vcc, s40, v12
	v_addc_co_u32_e32 v13, vcc, v14, v13, vcc
	global_load_dword v35, v[12:13], off
	v_mov_b32_e32 v15, v10
	s_andn2_b64 vcc, exec, s[52:53]
	v_mov_b32_e32 v14, v9
	s_mov_b64 s[84:85], s[78:79]
	s_mov_b64 s[86:87], s[76:77]
	s_mov_b32 s18, s91
	s_cbranch_vccnz .LBB4_18
.LBB4_20:                               ;   Parent Loop BB4_4 Depth=1
                                        ;     Parent Loop BB4_19 Depth=2
                                        ; =>    This Inner Loop Header: Depth=3
	global_load_dword v36, v[14:15], off
	global_load_dword v37, v34, s[86:87]
	global_load_dword v38, v34, s[84:85]
	s_add_i32 s18, s18, -1
	s_add_u32 s86, s86, -4
	s_addc_u32 s87, s87, -1
	s_add_u32 s84, s84, -4
	v_mov_b32_e32 v39, s95
	s_addc_u32 s85, s85, -1
	s_cmp_eq_u32 s18, 0
	s_waitcnt vmcnt(1)
	v_mul_f32_e32 v40, v37, v36
	s_waitcnt vmcnt(0)
	v_fmac_f32_e32 v40, v35, v38
	v_mul_f32_e32 v36, v38, v36
	global_store_dword v[14:15], v40, off
	v_add_co_u32_e32 v14, vcc, s59, v14
	v_fma_f32 v35, v35, v37, -v36
	v_addc_co_u32_e32 v15, vcc, v15, v39, vcc
	s_cbranch_scc0 .LBB4_20
	s_branch .LBB4_18
.LBB4_21:                               ;   in Loop: Header=BB4_4 Depth=1
	s_or_b64 exec, exec, s[80:81]
	s_mov_b64 s[80:81], 0
.LBB4_22:                               ;   in Loop: Header=BB4_4 Depth=1
	s_andn2_b64 vcc, exec, s[80:81]
	s_cbranch_vccnz .LBB4_29
; %bb.23:                               ;   in Loop: Header=BB4_4 Depth=1
	s_and_saveexec_b64 s[80:81], s[0:1]
	s_cbranch_execz .LBB4_28
; %bb.24:                               ;   in Loop: Header=BB4_4 Depth=1
	s_lshl_b64 s[40:41], s[66:67], 2
	s_add_u32 s40, s45, s40
	v_mov_b32_e32 v10, v4
	s_addc_u32 s41, s51, s41
	s_mov_b64 s[82:83], 0
	v_mov_b32_e32 v9, v3
	v_mov_b32_e32 v11, v0
	s_branch .LBB4_26
.LBB4_25:                               ;   in Loop: Header=BB4_26 Depth=2
	v_add_u32_e32 v11, s58, v11
	v_cmp_le_i32_e32 vcc, s19, v11
	s_waitcnt vmcnt(0)
	global_store_dword v[12:13], v35, off
	v_mov_b32_e32 v12, s63
	s_or_b64 s[82:83], vcc, s[82:83]
	v_add_co_u32_e32 v9, vcc, s62, v9
	v_addc_co_u32_e32 v10, vcc, v10, v12, vcc
	s_andn2_b64 exec, exec, s[82:83]
	s_cbranch_execz .LBB4_28
.LBB4_26:                               ;   Parent Loop BB4_4 Depth=1
                                        ; =>  This Loop Header: Depth=2
                                        ;       Child Loop BB4_27 Depth 3
	v_ashrrev_i32_e32 v12, 31, v11
	v_lshlrev_b64 v[12:13], 2, v[11:12]
	v_mov_b32_e32 v14, s41
	v_add_co_u32_e32 v12, vcc, s40, v12
	v_addc_co_u32_e32 v13, vcc, v14, v13, vcc
	global_load_dword v35, v[12:13], off
	v_mov_b32_e32 v15, v10
	s_andn2_b64 vcc, exec, s[52:53]
	v_mov_b32_e32 v14, v9
	s_mov_b64 s[84:85], s[70:71]
	s_mov_b64 s[86:87], s[20:21]
	s_mov_b32 s18, s91
	s_cbranch_vccnz .LBB4_25
.LBB4_27:                               ;   Parent Loop BB4_4 Depth=1
                                        ;     Parent Loop BB4_26 Depth=2
                                        ; =>    This Inner Loop Header: Depth=3
	global_load_dword v36, v[14:15], off
	global_load_dword v37, v34, s[86:87]
	global_load_dword v38, v34, s[84:85]
	s_add_i32 s18, s18, -1
	s_add_u32 s86, s86, 4
	s_addc_u32 s87, s87, 0
	s_add_u32 s84, s84, 4
	v_mov_b32_e32 v39, s65
	s_addc_u32 s85, s85, 0
	s_cmp_eq_u32 s18, 0
	s_waitcnt vmcnt(1)
	v_mul_f32_e32 v40, v37, v36
	s_waitcnt vmcnt(0)
	v_fmac_f32_e32 v40, v35, v38
	v_mul_f32_e32 v36, v38, v36
	global_store_dword v[14:15], v40, off
	v_add_co_u32_e32 v14, vcc, s64, v14
	v_fma_f32 v35, v35, v37, -v36
	v_addc_co_u32_e32 v15, vcc, v15, v39, vcc
	s_cbranch_scc0 .LBB4_27
	s_branch .LBB4_25
.LBB4_28:                               ;   in Loop: Header=BB4_4 Depth=1
	s_or_b64 exec, exec, s[80:81]
.LBB4_29:                               ;   in Loop: Header=BB4_4 Depth=1
	s_mov_b64 s[80:81], 0
.LBB4_30:                               ;   in Loop: Header=BB4_4 Depth=1
	s_andn2_b64 vcc, exec, s[80:81]
	s_cbranch_vccnz .LBB4_37
; %bb.31:                               ;   in Loop: Header=BB4_4 Depth=1
	s_and_saveexec_b64 s[80:81], s[0:1]
	s_cbranch_execz .LBB4_36
; %bb.32:                               ;   in Loop: Header=BB4_4 Depth=1
	v_mov_b32_e32 v10, v6
	s_mov_b64 s[82:83], 0
	v_mov_b32_e32 v9, v5
	v_mov_b32_e32 v11, v0
	s_branch .LBB4_34
.LBB4_33:                               ;   in Loop: Header=BB4_34 Depth=2
	v_add_u32_e32 v11, s58, v11
	v_cmp_le_i32_e32 vcc, s19, v11
	s_waitcnt vmcnt(0)
	global_store_dword v[12:13], v35, off
	v_mov_b32_e32 v12, s63
	s_or_b64 s[82:83], vcc, s[82:83]
	v_add_co_u32_e32 v9, vcc, s62, v9
	v_addc_co_u32_e32 v10, vcc, v10, v12, vcc
	s_andn2_b64 exec, exec, s[82:83]
	s_cbranch_execz .LBB4_36
.LBB4_34:                               ;   Parent Loop BB4_4 Depth=1
                                        ; =>  This Loop Header: Depth=2
                                        ;       Child Loop BB4_35 Depth 3
	v_ashrrev_i32_e32 v12, 31, v11
	v_lshlrev_b64 v[12:13], 2, v[11:12]
	v_mov_b32_e32 v14, s51
	v_add_co_u32_e32 v12, vcc, s45, v12
	v_addc_co_u32_e32 v13, vcc, v14, v13, vcc
	global_load_dword v35, v[12:13], off
	v_mov_b32_e32 v15, v10
	s_andn2_b64 vcc, exec, s[52:53]
	v_mov_b32_e32 v14, v9
	s_mov_b64 s[84:85], s[78:79]
	s_mov_b64 s[86:87], s[76:77]
	s_mov_b32 s18, s25
	s_cbranch_vccnz .LBB4_33
.LBB4_35:                               ;   Parent Loop BB4_4 Depth=1
                                        ;     Parent Loop BB4_34 Depth=2
                                        ; =>    This Inner Loop Header: Depth=3
	global_load_dword v36, v34, s[84:85]
	global_load_dword v37, v[14:15], off
	global_load_dword v38, v34, s[86:87]
	s_add_i32 s18, s18, -1
	s_waitcnt vmcnt(3)
	v_mov_b32_e32 v39, v35
	s_add_u32 s86, s86, -4
	s_addc_u32 s87, s87, -1
	s_add_u32 s84, s84, -4
	v_mov_b32_e32 v40, s95
	s_addc_u32 s85, s85, -1
	s_cmp_lt_u32 s18, 3
	s_waitcnt vmcnt(2)
	v_mul_f32_e32 v41, v39, v36
	s_waitcnt vmcnt(1)
	v_mul_f32_e32 v35, v36, v37
	s_waitcnt vmcnt(0)
	v_fma_f32 v36, v38, v37, -v41
	global_store_dword v[14:15], v36, off
	v_add_co_u32_e32 v14, vcc, s59, v14
	v_fmac_f32_e32 v35, v39, v38
	v_addc_co_u32_e32 v15, vcc, v15, v40, vcc
	s_cbranch_scc0 .LBB4_35
	s_branch .LBB4_33
.LBB4_36:                               ;   in Loop: Header=BB4_4 Depth=1
	s_or_b64 exec, exec, s[80:81]
.LBB4_37:                               ;   in Loop: Header=BB4_4 Depth=1
	s_mov_b64 s[80:81], 0
.LBB4_38:                               ;   in Loop: Header=BB4_4 Depth=1
	s_andn2_b64 vcc, exec, s[80:81]
	s_cbranch_vccnz .LBB4_45
; %bb.39:                               ;   in Loop: Header=BB4_4 Depth=1
	s_and_saveexec_b64 s[80:81], s[0:1]
	s_cbranch_execz .LBB4_44
; %bb.40:                               ;   in Loop: Header=BB4_4 Depth=1
	v_mov_b32_e32 v10, s43
	v_add_co_u32_e32 v9, vcc, s42, v22
	v_addc_co_u32_e32 v10, vcc, v23, v10, vcc
	s_mov_b64 s[82:83], 0
	v_mov_b32_e32 v11, v0
	s_branch .LBB4_42
.LBB4_41:                               ;   in Loop: Header=BB4_42 Depth=2
	v_add_u32_e32 v11, s58, v11
	v_cmp_le_i32_e32 vcc, s19, v11
	s_waitcnt vmcnt(0)
	global_store_dword v[12:13], v35, off
	v_mov_b32_e32 v12, s63
	s_or_b64 s[82:83], vcc, s[82:83]
	v_add_co_u32_e32 v9, vcc, s62, v9
	v_addc_co_u32_e32 v10, vcc, v10, v12, vcc
	s_andn2_b64 exec, exec, s[82:83]
	s_cbranch_execz .LBB4_44
.LBB4_42:                               ;   Parent Loop BB4_4 Depth=1
                                        ; =>  This Loop Header: Depth=2
                                        ;       Child Loop BB4_43 Depth 3
	v_ashrrev_i32_e32 v12, 31, v11
	v_lshlrev_b64 v[12:13], 2, v[11:12]
	v_mov_b32_e32 v14, s51
	v_add_co_u32_e32 v12, vcc, s45, v12
	v_addc_co_u32_e32 v13, vcc, v14, v13, vcc
	global_load_dword v35, v[12:13], off
	v_mov_b32_e32 v15, v10
	s_andn2_b64 vcc, exec, s[52:53]
	v_mov_b32_e32 v14, v9
	s_mov_b32 s18, s91
	s_mov_b64 s[84:85], s[20:21]
	s_mov_b64 s[86:87], s[70:71]
	s_cbranch_vccnz .LBB4_41
.LBB4_43:                               ;   Parent Loop BB4_4 Depth=1
                                        ;     Parent Loop BB4_42 Depth=2
                                        ; =>    This Inner Loop Header: Depth=3
	global_load_dword v36, v34, s[86:87]
	global_load_dword v37, v[14:15], off
	global_load_dword v38, v34, s[84:85]
	s_waitcnt vmcnt(3)
	v_mov_b32_e32 v39, v35
	s_add_u32 s86, s86, 4
	s_addc_u32 s87, s87, 0
	s_add_u32 s84, s84, 4
	v_mov_b32_e32 v40, s65
	s_addc_u32 s85, s85, 0
	s_add_i32 s18, s18, -1
	s_cmp_eq_u32 s18, 0
	s_waitcnt vmcnt(2)
	v_mul_f32_e32 v41, v39, v36
	s_waitcnt vmcnt(1)
	v_mul_f32_e32 v35, v36, v37
	s_waitcnt vmcnt(0)
	v_fma_f32 v36, v38, v37, -v41
	global_store_dword v[14:15], v36, off
	v_add_co_u32_e32 v14, vcc, s64, v14
	v_fmac_f32_e32 v35, v39, v38
	v_addc_co_u32_e32 v15, vcc, v15, v40, vcc
	s_cbranch_scc0 .LBB4_43
	s_branch .LBB4_41
.LBB4_44:                               ;   in Loop: Header=BB4_4 Depth=1
	s_or_b64 exec, exec, s[80:81]
.LBB4_45:                               ;   in Loop: Header=BB4_4 Depth=1
	s_mov_b64 s[80:81], 0
.LBB4_46:                               ;   in Loop: Header=BB4_4 Depth=1
	s_andn2_b64 vcc, exec, s[80:81]
	s_cbranch_vccnz .LBB4_54
; %bb.47:                               ;   in Loop: Header=BB4_4 Depth=1
	s_and_saveexec_b64 s[80:81], s[0:1]
	s_cbranch_execz .LBB4_53
; %bb.48:                               ;   in Loop: Header=BB4_4 Depth=1
	s_lshl_b64 s[40:41], s[66:67], 2
	s_add_u32 s40, s45, s40
	s_addc_u32 s41, s51, s41
	s_mov_b64 s[82:83], 0
	v_mov_b32_e32 v9, v0
	s_branch .LBB4_50
.LBB4_49:                               ;   in Loop: Header=BB4_50 Depth=2
	v_mov_b32_e32 v13, s51
	v_add_co_u32_e32 v10, vcc, s45, v10
	v_addc_co_u32_e32 v11, vcc, v13, v11, vcc
	s_waitcnt vmcnt(0)
	global_store_dword v[10:11], v12, off
	v_mov_b32_e32 v10, s63
	v_add_co_u32_e32 v5, vcc, s62, v5
	v_add_u32_e32 v9, s58, v9
	v_addc_co_u32_e32 v6, vcc, v6, v10, vcc
	v_cmp_le_i32_e32 vcc, s19, v9
	s_or_b64 s[82:83], vcc, s[82:83]
	v_add_co_u32_e32 v7, vcc, s62, v7
	v_addc_co_u32_e32 v8, vcc, v8, v10, vcc
	s_andn2_b64 exec, exec, s[82:83]
	s_cbranch_execz .LBB4_53
.LBB4_50:                               ;   Parent Loop BB4_4 Depth=1
                                        ; =>  This Loop Header: Depth=2
                                        ;       Child Loop BB4_52 Depth 3
	v_ashrrev_i32_e32 v10, 31, v9
	v_lshlrev_b64 v[10:11], 2, v[9:10]
	v_mov_b32_e32 v13, s41
	v_add_co_u32_e32 v12, vcc, s40, v10
	v_addc_co_u32_e32 v13, vcc, v13, v11, vcc
	global_load_dword v12, v[12:13], off
	s_andn2_b64 vcc, exec, s[52:53]
	s_cbranch_vccnz .LBB4_49
; %bb.51:                               ;   in Loop: Header=BB4_50 Depth=2
	s_mov_b64 s[84:85], 0
	s_mov_b64 s[86:87], s[78:79]
	;; [unrolled: 1-line block ×3, first 2 shown]
	s_mov_b32 s18, s91
.LBB4_52:                               ;   Parent Loop BB4_4 Depth=1
                                        ;     Parent Loop BB4_50 Depth=2
                                        ; =>    This Inner Loop Header: Depth=3
	v_mov_b32_e32 v35, s85
	v_add_co_u32_e32 v13, vcc, s84, v7
	v_addc_co_u32_e32 v14, vcc, v8, v35, vcc
	global_load_dword v15, v34, s[86:87]
	global_load_dword v36, v[13:14], off
	global_load_dword v37, v34, s[88:89]
	s_add_i32 s18, s18, -1
	v_add_co_u32_e32 v13, vcc, s84, v5
	s_sub_u32 s84, s84, s64
	s_subb_u32 s85, s85, s65
	s_add_u32 s88, s88, -4
	s_addc_u32 s89, s89, -1
	s_add_u32 s86, s86, -4
	s_waitcnt vmcnt(3)
	v_mov_b32_e32 v38, v12
	v_addc_co_u32_e32 v14, vcc, v6, v35, vcc
	s_addc_u32 s87, s87, -1
	s_cmp_eq_u32 s18, 0
	s_waitcnt vmcnt(1)
	v_mul_f32_e32 v35, v15, v36
	s_waitcnt vmcnt(0)
	v_mul_f32_e32 v12, v37, v36
	v_fma_f32 v35, v38, v37, -v35
	v_fmac_f32_e32 v12, v38, v15
	global_store_dword v[13:14], v35, off
	s_cbranch_scc0 .LBB4_52
	s_branch .LBB4_49
.LBB4_53:                               ;   in Loop: Header=BB4_4 Depth=1
	s_or_b64 exec, exec, s[80:81]
.LBB4_54:                               ;   in Loop: Header=BB4_4 Depth=1
	s_mov_b64 s[76:77], 0
.LBB4_55:                               ;   in Loop: Header=BB4_4 Depth=1
	s_andn2_b64 vcc, exec, s[76:77]
	s_cbranch_vccnz .LBB4_62
; %bb.56:                               ;   in Loop: Header=BB4_4 Depth=1
	s_and_saveexec_b64 s[76:77], s[0:1]
	s_cbranch_execz .LBB4_61
; %bb.57:                               ;   in Loop: Header=BB4_4 Depth=1
	s_lshl_b64 s[40:41], s[66:67], 2
	s_add_u32 s40, s45, s40
	s_addc_u32 s41, s51, s41
	s_mov_b64 s[78:79], 0
	v_mov_b32_e32 v5, v0
	s_branch .LBB4_59
.LBB4_58:                               ;   in Loop: Header=BB4_59 Depth=2
	v_mov_b32_e32 v8, s41
	v_add_co_u32_e32 v6, vcc, s40, v6
	v_addc_co_u32_e32 v7, vcc, v8, v7, vcc
	v_add_u32_e32 v5, s58, v5
	v_cmp_le_i32_e32 vcc, s19, v5
	s_waitcnt vmcnt(0)
	global_store_dword v[6:7], v10, off
	v_mov_b32_e32 v6, s63
	s_or_b64 s[78:79], vcc, s[78:79]
	v_add_co_u32_e32 v3, vcc, s62, v3
	v_addc_co_u32_e32 v4, vcc, v4, v6, vcc
	s_andn2_b64 exec, exec, s[78:79]
	s_cbranch_execz .LBB4_61
.LBB4_59:                               ;   Parent Loop BB4_4 Depth=1
                                        ; =>  This Loop Header: Depth=2
                                        ;       Child Loop BB4_60 Depth 3
	v_ashrrev_i32_e32 v6, 31, v5
	v_lshlrev_b64 v[6:7], 2, v[5:6]
	v_mov_b32_e32 v9, s51
	v_add_co_u32_e32 v8, vcc, s45, v6
	v_addc_co_u32_e32 v9, vcc, v9, v7, vcc
	global_load_dword v10, v[8:9], off
	v_mov_b32_e32 v9, v4
	s_andn2_b64 vcc, exec, s[52:53]
	s_mov_b64 s[80:81], s[70:71]
	s_mov_b64 s[82:83], s[20:21]
	v_mov_b32_e32 v8, v3
	s_mov_b32 s18, s91
	s_cbranch_vccnz .LBB4_58
.LBB4_60:                               ;   Parent Loop BB4_4 Depth=1
                                        ;     Parent Loop BB4_59 Depth=2
                                        ; =>    This Inner Loop Header: Depth=3
	v_mov_b32_e32 v12, s65
	v_add_co_u32_e32 v11, vcc, s64, v8
	global_load_dword v13, v34, s[80:81]
	v_addc_co_u32_e32 v12, vcc, v9, v12, vcc
	global_load_dword v14, v[11:12], off
	global_load_dword v15, v34, s[82:83]
	s_add_i32 s18, s18, -1
	s_add_u32 s82, s82, 4
	s_addc_u32 s83, s83, 0
	s_add_u32 s80, s80, 4
	s_addc_u32 s81, s81, 0
	s_cmp_eq_u32 s18, 0
	s_waitcnt vmcnt(2)
	v_mul_f32_e32 v35, v10, v13
	s_waitcnt vmcnt(1)
	v_mul_f32_e32 v13, v13, v14
	s_waitcnt vmcnt(0)
	v_fmac_f32_e32 v13, v10, v15
	global_store_dword v[8:9], v13, off
	v_mov_b32_e32 v8, v11
	v_fma_f32 v10, v15, v14, -v35
	v_mov_b32_e32 v9, v12
	s_cbranch_scc0 .LBB4_60
	s_branch .LBB4_58
.LBB4_61:                               ;   in Loop: Header=BB4_4 Depth=1
	s_or_b64 exec, exec, s[76:77]
.LBB4_62:                               ;   in Loop: Header=BB4_4 Depth=1
	s_mov_b64 s[76:77], 0
.LBB4_63:                               ;   in Loop: Header=BB4_4 Depth=1
	s_andn2_b64 vcc, exec, s[76:77]
	s_cbranch_vccnz .LBB4_70
; %bb.64:                               ;   in Loop: Header=BB4_4 Depth=1
	s_and_saveexec_b64 s[76:77], s[2:3]
	s_cbranch_execz .LBB4_69
; %bb.65:                               ;   in Loop: Header=BB4_4 Depth=1
	s_lshl_b64 s[40:41], s[54:55], 2
	v_mov_b32_e32 v4, s43
	v_add_co_u32_e32 v3, vcc, s42, v24
	s_add_u32 s40, s45, s40
	v_addc_co_u32_e32 v4, vcc, v25, v4, vcc
	s_addc_u32 s41, s51, s41
	s_mov_b64 s[78:79], 0
	v_mov_b32_e32 v9, v0
	s_branch .LBB4_67
.LBB4_66:                               ;   in Loop: Header=BB4_67 Depth=2
	v_add_u32_e32 v9, s58, v9
	v_cmp_le_i32_e32 vcc, s90, v9
	s_waitcnt vmcnt(0)
	global_store_dword v[5:6], v10, off offset:-4
	v_mov_b32_e32 v5, s69
	s_or_b64 s[78:79], vcc, s[78:79]
	v_add_co_u32_e32 v3, vcc, s68, v3
	v_addc_co_u32_e32 v4, vcc, v4, v5, vcc
	s_andn2_b64 exec, exec, s[78:79]
	s_cbranch_execz .LBB4_69
.LBB4_67:                               ;   Parent Loop BB4_4 Depth=1
                                        ; =>  This Loop Header: Depth=2
                                        ;       Child Loop BB4_68 Depth 3
	v_mad_i64_i32 v[5:6], s[80:81], v9, s24, 0
	v_mov_b32_e32 v7, s41
	s_mov_b64 s[80:81], s[74:75]
	v_lshlrev_b64 v[5:6], 2, v[5:6]
	s_mov_b64 s[82:83], s[72:73]
	v_add_co_u32_e32 v5, vcc, s40, v5
	v_addc_co_u32_e32 v6, vcc, v7, v6, vcc
	global_load_dword v10, v[5:6], off offset:-4
	v_mov_b32_e32 v8, v4
	s_andn2_b64 vcc, exec, s[56:57]
	v_mov_b32_e32 v7, v3
	s_mov_b32 s18, s50
	s_cbranch_vccnz .LBB4_66
.LBB4_68:                               ;   Parent Loop BB4_4 Depth=1
                                        ;     Parent Loop BB4_67 Depth=2
                                        ; =>    This Inner Loop Header: Depth=3
	global_load_dword v11, v[7:8], off
	global_load_dword v12, v34, s[82:83]
	global_load_dword v13, v34, s[80:81]
	s_add_i32 s18, s18, -1
	s_add_u32 s82, s82, -4
	s_addc_u32 s83, s83, -1
	s_add_u32 s80, s80, -4
	s_addc_u32 s81, s81, -1
	s_cmp_eq_u32 s18, 0
	s_waitcnt vmcnt(1)
	v_mul_f32_e32 v14, v12, v11
	s_waitcnt vmcnt(0)
	v_fmac_f32_e32 v14, v10, v13
	v_mul_f32_e32 v11, v13, v11
	global_store_dword v[7:8], v14, off
	v_add_co_u32_e32 v7, vcc, -4, v7
	v_fma_f32 v10, v10, v12, -v11
	v_addc_co_u32_e32 v8, vcc, -1, v8, vcc
	s_cbranch_scc0 .LBB4_68
	s_branch .LBB4_66
.LBB4_69:                               ;   in Loop: Header=BB4_4 Depth=1
	s_or_b64 exec, exec, s[76:77]
.LBB4_70:                               ;   in Loop: Header=BB4_4 Depth=1
	s_mov_b64 s[76:77], 0
.LBB4_71:                               ;   in Loop: Header=BB4_4 Depth=1
	s_andn2_b64 vcc, exec, s[76:77]
	s_cbranch_vccnz .LBB4_78
; %bb.72:                               ;   in Loop: Header=BB4_4 Depth=1
	s_and_saveexec_b64 s[76:77], s[2:3]
	s_cbranch_execz .LBB4_77
; %bb.73:                               ;   in Loop: Header=BB4_4 Depth=1
	s_lshl_b64 s[40:41], s[54:55], 2
	v_mov_b32_e32 v4, s43
	v_add_co_u32_e32 v3, vcc, s42, v26
	s_add_u32 s40, s45, s40
	v_addc_co_u32_e32 v4, vcc, v27, v4, vcc
	s_addc_u32 s41, s51, s41
	s_mov_b64 s[78:79], 0
	v_mov_b32_e32 v9, v0
	s_branch .LBB4_75
.LBB4_74:                               ;   in Loop: Header=BB4_75 Depth=2
	v_add_u32_e32 v9, s58, v9
	v_cmp_le_i32_e32 vcc, s90, v9
	s_waitcnt vmcnt(0)
	global_store_dword v[5:6], v10, off offset:-4
	v_mov_b32_e32 v5, s69
	s_or_b64 s[78:79], vcc, s[78:79]
	v_add_co_u32_e32 v3, vcc, s68, v3
	v_addc_co_u32_e32 v4, vcc, v4, v5, vcc
	s_andn2_b64 exec, exec, s[78:79]
	s_cbranch_execz .LBB4_77
.LBB4_75:                               ;   Parent Loop BB4_4 Depth=1
                                        ; =>  This Loop Header: Depth=2
                                        ;       Child Loop BB4_76 Depth 3
	v_mad_i64_i32 v[5:6], s[80:81], v9, s24, 0
	v_mov_b32_e32 v7, s41
	s_mov_b64 s[80:81], s[70:71]
	v_lshlrev_b64 v[5:6], 2, v[5:6]
	s_mov_b64 s[82:83], s[20:21]
	v_add_co_u32_e32 v5, vcc, s40, v5
	v_addc_co_u32_e32 v6, vcc, v7, v6, vcc
	global_load_dword v10, v[5:6], off offset:-4
	v_mov_b32_e32 v8, v4
	s_andn2_b64 vcc, exec, s[56:57]
	v_mov_b32_e32 v7, v3
	s_mov_b32 s18, s50
	s_cbranch_vccnz .LBB4_74
.LBB4_76:                               ;   Parent Loop BB4_4 Depth=1
                                        ;     Parent Loop BB4_75 Depth=2
                                        ; =>    This Inner Loop Header: Depth=3
	global_load_dword v11, v[7:8], off
	global_load_dword v12, v34, s[82:83]
	global_load_dword v13, v34, s[80:81]
	s_add_i32 s18, s18, -1
	s_add_u32 s82, s82, 4
	s_addc_u32 s83, s83, 0
	s_add_u32 s80, s80, 4
	s_addc_u32 s81, s81, 0
	s_cmp_eq_u32 s18, 0
	s_waitcnt vmcnt(1)
	v_mul_f32_e32 v14, v12, v11
	s_waitcnt vmcnt(0)
	v_fmac_f32_e32 v14, v10, v13
	v_mul_f32_e32 v11, v13, v11
	global_store_dword v[7:8], v14, off
	v_add_co_u32_e32 v7, vcc, 4, v7
	v_fma_f32 v10, v10, v12, -v11
	v_addc_co_u32_e32 v8, vcc, 0, v8, vcc
	s_cbranch_scc0 .LBB4_76
	s_branch .LBB4_74
.LBB4_77:                               ;   in Loop: Header=BB4_4 Depth=1
	s_or_b64 exec, exec, s[76:77]
.LBB4_78:                               ;   in Loop: Header=BB4_4 Depth=1
	s_mov_b64 s[76:77], 0
.LBB4_79:                               ;   in Loop: Header=BB4_4 Depth=1
	s_andn2_b64 vcc, exec, s[76:77]
	s_cbranch_vccnz .LBB4_86
; %bb.80:                               ;   in Loop: Header=BB4_4 Depth=1
	s_and_saveexec_b64 s[76:77], s[2:3]
	s_cbranch_execz .LBB4_85
; %bb.81:                               ;   in Loop: Header=BB4_4 Depth=1
	v_mov_b32_e32 v4, s43
	v_add_co_u32_e32 v3, vcc, s42, v28
	v_addc_co_u32_e32 v4, vcc, v29, v4, vcc
	s_mov_b64 s[78:79], 0
	v_mov_b32_e32 v9, v0
	s_branch .LBB4_83
.LBB4_82:                               ;   in Loop: Header=BB4_83 Depth=2
	v_add_u32_e32 v9, s58, v9
	v_cmp_le_i32_e32 vcc, s90, v9
	s_waitcnt vmcnt(0)
	global_store_dword v[5:6], v10, off
	v_mov_b32_e32 v5, s69
	s_or_b64 s[78:79], vcc, s[78:79]
	v_add_co_u32_e32 v3, vcc, s68, v3
	v_addc_co_u32_e32 v4, vcc, v4, v5, vcc
	s_andn2_b64 exec, exec, s[78:79]
	s_cbranch_execz .LBB4_85
.LBB4_83:                               ;   Parent Loop BB4_4 Depth=1
                                        ; =>  This Loop Header: Depth=2
                                        ;       Child Loop BB4_84 Depth 3
	v_mad_i64_i32 v[5:6], s[40:41], v9, s24, 0
	v_mov_b32_e32 v7, s51
	s_mov_b64 s[80:81], s[74:75]
	v_lshlrev_b64 v[5:6], 2, v[5:6]
	s_mov_b64 s[82:83], s[72:73]
	v_add_co_u32_e32 v5, vcc, s45, v5
	v_addc_co_u32_e32 v6, vcc, v7, v6, vcc
	global_load_dword v10, v[5:6], off
	v_mov_b32_e32 v8, v4
	s_andn2_b64 vcc, exec, s[56:57]
	v_mov_b32_e32 v7, v3
	s_mov_b32 s18, s44
	s_cbranch_vccnz .LBB4_82
.LBB4_84:                               ;   Parent Loop BB4_4 Depth=1
                                        ;     Parent Loop BB4_83 Depth=2
                                        ; =>    This Inner Loop Header: Depth=3
	global_load_dword v11, v34, s[80:81]
	global_load_dword v12, v[7:8], off
	global_load_dword v13, v34, s[82:83]
	s_add_i32 s18, s18, -1
	s_waitcnt vmcnt(3)
	v_mov_b32_e32 v14, v10
	s_add_u32 s82, s82, -4
	s_addc_u32 s83, s83, -1
	s_add_u32 s80, s80, -4
	s_addc_u32 s81, s81, -1
	s_cmp_lt_u32 s18, 3
	s_waitcnt vmcnt(2)
	v_mul_f32_e32 v15, v14, v11
	s_waitcnt vmcnt(1)
	v_mul_f32_e32 v10, v11, v12
	s_waitcnt vmcnt(0)
	v_fma_f32 v11, v13, v12, -v15
	global_store_dword v[7:8], v11, off
	v_add_co_u32_e32 v7, vcc, -4, v7
	v_fmac_f32_e32 v10, v14, v13
	v_addc_co_u32_e32 v8, vcc, -1, v8, vcc
	s_cbranch_scc0 .LBB4_84
	s_branch .LBB4_82
.LBB4_85:                               ;   in Loop: Header=BB4_4 Depth=1
	s_or_b64 exec, exec, s[76:77]
.LBB4_86:                               ;   in Loop: Header=BB4_4 Depth=1
	s_mov_b64 s[76:77], 0
.LBB4_87:                               ;   in Loop: Header=BB4_4 Depth=1
	s_andn2_b64 vcc, exec, s[76:77]
	s_cbranch_vccnz .LBB4_94
; %bb.88:                               ;   in Loop: Header=BB4_4 Depth=1
	s_and_saveexec_b64 s[76:77], s[2:3]
	s_cbranch_execz .LBB4_93
; %bb.89:                               ;   in Loop: Header=BB4_4 Depth=1
	v_mov_b32_e32 v4, v2
	s_mov_b64 s[78:79], 0
	v_mov_b32_e32 v3, v1
	v_mov_b32_e32 v9, v0
	s_branch .LBB4_91
.LBB4_90:                               ;   in Loop: Header=BB4_91 Depth=2
	v_add_u32_e32 v9, s58, v9
	v_cmp_le_i32_e32 vcc, s90, v9
	s_waitcnt vmcnt(0)
	global_store_dword v[5:6], v10, off
	v_mov_b32_e32 v5, s69
	s_or_b64 s[78:79], vcc, s[78:79]
	v_add_co_u32_e32 v3, vcc, s68, v3
	v_addc_co_u32_e32 v4, vcc, v4, v5, vcc
	s_andn2_b64 exec, exec, s[78:79]
	s_cbranch_execz .LBB4_93
.LBB4_91:                               ;   Parent Loop BB4_4 Depth=1
                                        ; =>  This Loop Header: Depth=2
                                        ;       Child Loop BB4_92 Depth 3
	v_mad_i64_i32 v[5:6], s[40:41], v9, s24, 0
	v_mov_b32_e32 v7, s51
	s_mov_b32 s18, s50
	v_lshlrev_b64 v[5:6], 2, v[5:6]
	s_mov_b64 s[80:81], s[20:21]
	v_add_co_u32_e32 v5, vcc, s45, v5
	v_addc_co_u32_e32 v6, vcc, v7, v6, vcc
	global_load_dword v10, v[5:6], off
	v_mov_b32_e32 v8, v4
	s_andn2_b64 vcc, exec, s[56:57]
	v_mov_b32_e32 v7, v3
	s_mov_b64 s[82:83], s[70:71]
	s_cbranch_vccnz .LBB4_90
.LBB4_92:                               ;   Parent Loop BB4_4 Depth=1
                                        ;     Parent Loop BB4_91 Depth=2
                                        ; =>    This Inner Loop Header: Depth=3
	global_load_dword v11, v34, s[82:83]
	global_load_dword v12, v[7:8], off
	global_load_dword v13, v34, s[80:81]
	s_waitcnt vmcnt(3)
	v_mov_b32_e32 v14, v10
	s_add_u32 s82, s82, 4
	s_addc_u32 s83, s83, 0
	s_add_u32 s80, s80, 4
	s_addc_u32 s81, s81, 0
	s_add_i32 s18, s18, -1
	s_cmp_eq_u32 s18, 0
	s_waitcnt vmcnt(2)
	v_mul_f32_e32 v15, v14, v11
	s_waitcnt vmcnt(1)
	v_mul_f32_e32 v10, v11, v12
	s_waitcnt vmcnt(0)
	v_fma_f32 v11, v13, v12, -v15
	global_store_dword v[7:8], v11, off
	v_add_co_u32_e32 v7, vcc, 4, v7
	v_fmac_f32_e32 v10, v14, v13
	v_addc_co_u32_e32 v8, vcc, 0, v8, vcc
	s_cbranch_scc0 .LBB4_92
	s_branch .LBB4_90
.LBB4_93:                               ;   in Loop: Header=BB4_4 Depth=1
	s_or_b64 exec, exec, s[76:77]
.LBB4_94:                               ;   in Loop: Header=BB4_4 Depth=1
	s_mov_b64 s[76:77], 0
.LBB4_95:                               ;   in Loop: Header=BB4_4 Depth=1
	s_andn2_b64 vcc, exec, s[76:77]
	s_cbranch_vccnz .LBB4_102
; %bb.96:                               ;   in Loop: Header=BB4_4 Depth=1
	s_and_saveexec_b64 s[76:77], s[2:3]
	s_cbranch_execz .LBB4_101
; %bb.97:                               ;   in Loop: Header=BB4_4 Depth=1
	s_lshl_b64 s[40:41], s[54:55], 2
	v_mov_b32_e32 v4, s43
	v_add_co_u32_e32 v3, vcc, s42, v32
	s_add_u32 s40, s45, s40
	v_addc_co_u32_e32 v4, vcc, v33, v4, vcc
	s_addc_u32 s41, s51, s41
	s_mov_b64 s[78:79], 0
	v_mov_b32_e32 v9, v0
	s_branch .LBB4_99
.LBB4_98:                               ;   in Loop: Header=BB4_99 Depth=2
	v_mov_b32_e32 v7, s51
	v_add_co_u32_e32 v5, vcc, s45, v5
	v_addc_co_u32_e32 v6, vcc, v7, v6, vcc
	v_add_u32_e32 v9, s58, v9
	v_cmp_le_i32_e32 vcc, s90, v9
	s_waitcnt vmcnt(0)
	global_store_dword v[5:6], v10, off
	v_mov_b32_e32 v5, s69
	s_or_b64 s[78:79], vcc, s[78:79]
	v_add_co_u32_e32 v3, vcc, s68, v3
	v_addc_co_u32_e32 v4, vcc, v4, v5, vcc
	s_andn2_b64 exec, exec, s[78:79]
	s_cbranch_execz .LBB4_101
.LBB4_99:                               ;   Parent Loop BB4_4 Depth=1
                                        ; =>  This Loop Header: Depth=2
                                        ;       Child Loop BB4_100 Depth 3
	v_mad_i64_i32 v[5:6], s[42:43], v9, s24, 0
	v_mov_b32_e32 v8, s41
	s_mov_b64 s[80:81], s[74:75]
	v_lshlrev_b64 v[5:6], 2, v[5:6]
	s_mov_b64 s[82:83], s[72:73]
	v_add_co_u32_e32 v7, vcc, s40, v5
	v_addc_co_u32_e32 v8, vcc, v8, v6, vcc
	global_load_dword v10, v[7:8], off offset:-4
	v_mov_b32_e32 v8, v4
	s_andn2_b64 vcc, exec, s[56:57]
	v_mov_b32_e32 v7, v3
	s_mov_b32 s18, s50
	s_cbranch_vccnz .LBB4_98
.LBB4_100:                              ;   Parent Loop BB4_4 Depth=1
                                        ;     Parent Loop BB4_99 Depth=2
                                        ; =>    This Inner Loop Header: Depth=3
	global_load_dword v13, v[7:8], off offset:-4
	global_load_dword v14, v34, s[80:81]
	global_load_dword v15, v34, s[82:83]
	s_add_i32 s18, s18, -1
	s_add_u32 s82, s82, -4
	s_waitcnt vmcnt(3)
	v_mov_b32_e32 v35, v10
	s_addc_u32 s83, s83, -1
	v_add_co_u32_e32 v11, vcc, -4, v7
	s_add_u32 s80, s80, -4
	v_addc_co_u32_e32 v12, vcc, -1, v8, vcc
	s_addc_u32 s81, s81, -1
	s_cmp_eq_u32 s18, 0
	s_waitcnt vmcnt(1)
	v_mul_f32_e32 v36, v14, v13
	s_waitcnt vmcnt(0)
	v_mul_f32_e32 v10, v15, v13
	v_fma_f32 v13, v35, v15, -v36
	global_store_dword v[7:8], v13, off
	v_mov_b32_e32 v7, v11
	v_fmac_f32_e32 v10, v35, v14
	v_mov_b32_e32 v8, v12
	s_cbranch_scc0 .LBB4_100
	s_branch .LBB4_98
.LBB4_101:                              ;   in Loop: Header=BB4_4 Depth=1
	s_or_b64 exec, exec, s[76:77]
.LBB4_102:                              ;   in Loop: Header=BB4_4 Depth=1
	s_cbranch_execnz .LBB4_3
.LBB4_103:                              ;   in Loop: Header=BB4_4 Depth=1
	s_and_saveexec_b64 s[72:73], s[2:3]
	s_cbranch_execz .LBB4_2
; %bb.104:                              ;   in Loop: Header=BB4_4 Depth=1
	s_lshl_b64 s[40:41], s[54:55], 2
	s_add_u32 s40, s45, s40
	s_addc_u32 s41, s51, s41
	s_mov_b64 s[74:75], 0
	v_mov_b32_e32 v7, v0
	s_branch .LBB4_106
.LBB4_105:                              ;   in Loop: Header=BB4_106 Depth=2
	v_mov_b32_e32 v5, s41
	v_add_co_u32_e32 v3, vcc, s40, v3
	v_addc_co_u32_e32 v4, vcc, v5, v4, vcc
	v_add_u32_e32 v7, s58, v7
	v_cmp_le_i32_e32 vcc, s90, v7
	s_waitcnt vmcnt(0)
	global_store_dword v[3:4], v8, off offset:-4
	v_mov_b32_e32 v3, s69
	s_or_b64 s[74:75], vcc, s[74:75]
	v_add_co_u32_e32 v1, vcc, s68, v1
	v_addc_co_u32_e32 v2, vcc, v2, v3, vcc
	s_andn2_b64 exec, exec, s[74:75]
	s_cbranch_execz .LBB4_2
.LBB4_106:                              ;   Parent Loop BB4_4 Depth=1
                                        ; =>  This Loop Header: Depth=2
                                        ;       Child Loop BB4_107 Depth 3
	v_mad_i64_i32 v[3:4], s[42:43], v7, s24, 0
	v_mov_b32_e32 v6, s51
	s_mov_b64 s[76:77], s[70:71]
	v_lshlrev_b64 v[3:4], 2, v[3:4]
	s_mov_b64 s[78:79], s[20:21]
	v_add_co_u32_e32 v5, vcc, s45, v3
	v_addc_co_u32_e32 v6, vcc, v6, v4, vcc
	global_load_dword v8, v[5:6], off
	v_mov_b32_e32 v6, v2
	s_andn2_b64 vcc, exec, s[56:57]
	v_mov_b32_e32 v5, v1
	s_mov_b32 s42, s50
	s_cbranch_vccnz .LBB4_105
.LBB4_107:                              ;   Parent Loop BB4_4 Depth=1
                                        ;     Parent Loop BB4_106 Depth=2
                                        ; =>    This Inner Loop Header: Depth=3
	global_load_dword v9, v34, s[78:79]
	global_load_dword v10, v34, s[76:77]
	global_load_dword v11, v[5:6], off
	s_add_i32 s42, s42, -1
	s_add_u32 s78, s78, 4
	s_addc_u32 s79, s79, 0
	s_add_u32 s76, s76, 4
	s_addc_u32 s77, s77, 0
	s_cmp_eq_u32 s42, 0
	s_waitcnt vmcnt(0)
	v_mul_f32_e32 v12, v10, v11
	v_fmac_f32_e32 v12, v8, v9
	global_store_dword v[5:6], v12, off offset:-4
	v_mul_f32_e32 v8, v8, v10
	v_add_co_u32_e32 v5, vcc, 4, v5
	v_fma_f32 v8, v9, v11, -v8
	v_addc_co_u32_e32 v6, vcc, 0, v6, vcc
	s_cbranch_scc0 .LBB4_107
	s_branch .LBB4_105
.LBB4_108:
	s_endpgm
	.section	.rodata,"a",@progbits
	.p2align	6, 0x0
	.amdhsa_kernel _ZN9rocsolver6v33100L11lasr_kernelIffPfiEEv13rocblas_side_14rocblas_pivot_15rocblas_direct_T2_S6_PT0_lS8_lT1_lS6_lS6_
		.amdhsa_group_segment_fixed_size 0
		.amdhsa_private_segment_fixed_size 0
		.amdhsa_kernarg_size 352
		.amdhsa_user_sgpr_count 6
		.amdhsa_user_sgpr_private_segment_buffer 1
		.amdhsa_user_sgpr_dispatch_ptr 0
		.amdhsa_user_sgpr_queue_ptr 0
		.amdhsa_user_sgpr_kernarg_segment_ptr 1
		.amdhsa_user_sgpr_dispatch_id 0
		.amdhsa_user_sgpr_flat_scratch_init 0
		.amdhsa_user_sgpr_private_segment_size 0
		.amdhsa_uses_dynamic_stack 0
		.amdhsa_system_sgpr_private_segment_wavefront_offset 0
		.amdhsa_system_sgpr_workgroup_id_x 1
		.amdhsa_system_sgpr_workgroup_id_y 0
		.amdhsa_system_sgpr_workgroup_id_z 1
		.amdhsa_system_sgpr_workgroup_info 0
		.amdhsa_system_vgpr_workitem_id 0
		.amdhsa_next_free_vgpr 43
		.amdhsa_next_free_sgpr 96
		.amdhsa_reserve_vcc 1
		.amdhsa_reserve_flat_scratch 0
		.amdhsa_float_round_mode_32 0
		.amdhsa_float_round_mode_16_64 0
		.amdhsa_float_denorm_mode_32 3
		.amdhsa_float_denorm_mode_16_64 3
		.amdhsa_dx10_clamp 1
		.amdhsa_ieee_mode 1
		.amdhsa_fp16_overflow 0
		.amdhsa_exception_fp_ieee_invalid_op 0
		.amdhsa_exception_fp_denorm_src 0
		.amdhsa_exception_fp_ieee_div_zero 0
		.amdhsa_exception_fp_ieee_overflow 0
		.amdhsa_exception_fp_ieee_underflow 0
		.amdhsa_exception_fp_ieee_inexact 0
		.amdhsa_exception_int_div_zero 0
	.end_amdhsa_kernel
	.section	.text._ZN9rocsolver6v33100L11lasr_kernelIffPfiEEv13rocblas_side_14rocblas_pivot_15rocblas_direct_T2_S6_PT0_lS8_lT1_lS6_lS6_,"axG",@progbits,_ZN9rocsolver6v33100L11lasr_kernelIffPfiEEv13rocblas_side_14rocblas_pivot_15rocblas_direct_T2_S6_PT0_lS8_lT1_lS6_lS6_,comdat
.Lfunc_end4:
	.size	_ZN9rocsolver6v33100L11lasr_kernelIffPfiEEv13rocblas_side_14rocblas_pivot_15rocblas_direct_T2_S6_PT0_lS8_lT1_lS6_lS6_, .Lfunc_end4-_ZN9rocsolver6v33100L11lasr_kernelIffPfiEEv13rocblas_side_14rocblas_pivot_15rocblas_direct_T2_S6_PT0_lS8_lT1_lS6_lS6_
                                        ; -- End function
	.set _ZN9rocsolver6v33100L11lasr_kernelIffPfiEEv13rocblas_side_14rocblas_pivot_15rocblas_direct_T2_S6_PT0_lS8_lT1_lS6_lS6_.num_vgpr, 43
	.set _ZN9rocsolver6v33100L11lasr_kernelIffPfiEEv13rocblas_side_14rocblas_pivot_15rocblas_direct_T2_S6_PT0_lS8_lT1_lS6_lS6_.num_agpr, 0
	.set _ZN9rocsolver6v33100L11lasr_kernelIffPfiEEv13rocblas_side_14rocblas_pivot_15rocblas_direct_T2_S6_PT0_lS8_lT1_lS6_lS6_.numbered_sgpr, 96
	.set _ZN9rocsolver6v33100L11lasr_kernelIffPfiEEv13rocblas_side_14rocblas_pivot_15rocblas_direct_T2_S6_PT0_lS8_lT1_lS6_lS6_.num_named_barrier, 0
	.set _ZN9rocsolver6v33100L11lasr_kernelIffPfiEEv13rocblas_side_14rocblas_pivot_15rocblas_direct_T2_S6_PT0_lS8_lT1_lS6_lS6_.private_seg_size, 0
	.set _ZN9rocsolver6v33100L11lasr_kernelIffPfiEEv13rocblas_side_14rocblas_pivot_15rocblas_direct_T2_S6_PT0_lS8_lT1_lS6_lS6_.uses_vcc, 1
	.set _ZN9rocsolver6v33100L11lasr_kernelIffPfiEEv13rocblas_side_14rocblas_pivot_15rocblas_direct_T2_S6_PT0_lS8_lT1_lS6_lS6_.uses_flat_scratch, 0
	.set _ZN9rocsolver6v33100L11lasr_kernelIffPfiEEv13rocblas_side_14rocblas_pivot_15rocblas_direct_T2_S6_PT0_lS8_lT1_lS6_lS6_.has_dyn_sized_stack, 0
	.set _ZN9rocsolver6v33100L11lasr_kernelIffPfiEEv13rocblas_side_14rocblas_pivot_15rocblas_direct_T2_S6_PT0_lS8_lT1_lS6_lS6_.has_recursion, 0
	.set _ZN9rocsolver6v33100L11lasr_kernelIffPfiEEv13rocblas_side_14rocblas_pivot_15rocblas_direct_T2_S6_PT0_lS8_lT1_lS6_lS6_.has_indirect_call, 0
	.section	.AMDGPU.csdata,"",@progbits
; Kernel info:
; codeLenInByte = 4456
; TotalNumSgprs: 100
; NumVgprs: 43
; ScratchSize: 0
; MemoryBound: 0
; FloatMode: 240
; IeeeMode: 1
; LDSByteSize: 0 bytes/workgroup (compile time only)
; SGPRBlocks: 12
; VGPRBlocks: 10
; NumSGPRsForWavesPerEU: 100
; NumVGPRsForWavesPerEU: 43
; Occupancy: 5
; WaveLimiterHint : 0
; COMPUTE_PGM_RSRC2:SCRATCH_EN: 0
; COMPUTE_PGM_RSRC2:USER_SGPR: 6
; COMPUTE_PGM_RSRC2:TRAP_HANDLER: 0
; COMPUTE_PGM_RSRC2:TGID_X_EN: 1
; COMPUTE_PGM_RSRC2:TGID_Y_EN: 0
; COMPUTE_PGM_RSRC2:TGID_Z_EN: 1
; COMPUTE_PGM_RSRC2:TIDIG_COMP_CNT: 0
	.section	.text._ZN9rocsolver6v33100L11swap_kernelIfiEEvT0_PT_S2_S4_S2_,"axG",@progbits,_ZN9rocsolver6v33100L11swap_kernelIfiEEvT0_PT_S2_S4_S2_,comdat
	.globl	_ZN9rocsolver6v33100L11swap_kernelIfiEEvT0_PT_S2_S4_S2_ ; -- Begin function _ZN9rocsolver6v33100L11swap_kernelIfiEEvT0_PT_S2_S4_S2_
	.p2align	8
	.type	_ZN9rocsolver6v33100L11swap_kernelIfiEEvT0_PT_S2_S4_S2_,@function
_ZN9rocsolver6v33100L11swap_kernelIfiEEvT0_PT_S2_S4_S2_: ; @_ZN9rocsolver6v33100L11swap_kernelIfiEEvT0_PT_S2_S4_S2_
; %bb.0:
	s_load_dword s16, s[4:5], 0x0
	s_waitcnt lgkmcnt(0)
	s_cmp_lt_i32 s16, 1
	s_cbranch_scc1 .LBB5_10
; %bb.1:
	s_load_dword s0, s[4:5], 0x28
	s_load_dword s1, s[4:5], 0x34
	s_load_dwordx2 s[2:3], s[4:5], 0x8
	s_load_dword s12, s[4:5], 0x10
	s_load_dwordx2 s[8:9], s[4:5], 0x18
	s_load_dword s10, s[4:5], 0x20
	s_waitcnt lgkmcnt(0)
	s_and_b32 s1, s1, 0xffff
	s_mul_i32 s6, s6, s1
	s_cmp_eq_u32 s12, 1
	s_mul_i32 s4, s0, s1
	s_cselect_b64 s[0:1], -1, 0
	s_cmp_eq_u32 s10, 1
	v_add_u32_e32 v0, s6, v0
	s_cselect_b64 s[6:7], -1, 0
	s_and_b64 s[14:15], s[0:1], s[6:7]
	v_cmp_gt_i32_e64 s[0:1], s16, v0
	s_mov_b64 s[6:7], -1
	s_and_b64 vcc, exec, s[14:15]
	s_cbranch_vccnz .LBB5_6
; %bb.2:
	s_and_saveexec_b64 s[6:7], s[0:1]
	s_cbranch_execz .LBB5_5
; %bb.3:
	v_mad_i64_i32 v[1:2], s[14:15], s10, v0, 0
	v_mov_b32_e32 v3, s9
	s_mul_hi_i32 s11, s10, s4
	v_lshlrev_b64 v[1:2], 2, v[1:2]
	s_mul_i32 s10, s10, s4
	v_add_co_u32_e32 v1, vcc, s8, v1
	v_addc_co_u32_e32 v2, vcc, v3, v2, vcc
	v_mad_i64_i32 v[3:4], s[14:15], s12, v0, 0
	s_mul_hi_i32 s13, s12, s4
	s_mul_i32 s12, s12, s4
	v_lshlrev_b64 v[3:4], 2, v[3:4]
	s_lshl_b64 s[10:11], s[10:11], 2
	v_mov_b32_e32 v5, s3
	v_add_co_u32_e32 v3, vcc, s2, v3
	s_lshl_b64 s[12:13], s[12:13], 2
	v_addc_co_u32_e32 v4, vcc, v5, v4, vcc
	s_mov_b64 s[14:15], 0
	v_mov_b32_e32 v5, s11
	v_mov_b32_e32 v6, s13
	;; [unrolled: 1-line block ×3, first 2 shown]
.LBB5_4:                                ; =>This Inner Loop Header: Depth=1
	global_load_dword v8, v[3:4], off
	global_load_dword v9, v[1:2], off
	v_add_u32_e32 v7, s4, v7
	v_cmp_le_i32_e32 vcc, s16, v7
	s_or_b64 s[14:15], vcc, s[14:15]
	s_waitcnt vmcnt(1)
	global_store_dword v[1:2], v8, off
	s_waitcnt vmcnt(1)
	global_store_dword v[3:4], v9, off
	v_add_co_u32_e32 v1, vcc, s10, v1
	v_addc_co_u32_e32 v2, vcc, v2, v5, vcc
	v_add_co_u32_e32 v3, vcc, s12, v3
	v_addc_co_u32_e32 v4, vcc, v4, v6, vcc
	s_andn2_b64 exec, exec, s[14:15]
	s_cbranch_execnz .LBB5_4
.LBB5_5:
	s_or_b64 exec, exec, s[6:7]
	s_mov_b64 s[6:7], 0
.LBB5_6:
	s_andn2_b64 vcc, exec, s[6:7]
	s_cbranch_vccnz .LBB5_10
; %bb.7:
	s_and_saveexec_b64 s[6:7], s[0:1]
	s_cbranch_execz .LBB5_10
; %bb.8:
	v_ashrrev_i32_e32 v1, 31, v0
	s_ashr_i32 s5, s4, 31
	v_lshlrev_b64 v[1:2], 2, v[0:1]
	s_lshl_b64 s[0:1], s[4:5], 2
	s_mov_b64 s[6:7], 0
	v_mov_b32_e32 v3, s9
	v_mov_b32_e32 v4, s3
	;; [unrolled: 1-line block ×3, first 2 shown]
.LBB5_9:                                ; =>This Inner Loop Header: Depth=1
	v_add_co_u32_e32 v6, vcc, s8, v1
	v_addc_co_u32_e32 v7, vcc, v3, v2, vcc
	v_add_co_u32_e32 v8, vcc, s2, v1
	v_addc_co_u32_e32 v9, vcc, v4, v2, vcc
	global_load_dword v10, v[8:9], off
	global_load_dword v11, v[6:7], off
	v_add_co_u32_e32 v1, vcc, s0, v1
	v_add_u32_e32 v0, s4, v0
	v_addc_co_u32_e32 v2, vcc, v2, v5, vcc
	v_cmp_le_i32_e32 vcc, s16, v0
	s_or_b64 s[6:7], vcc, s[6:7]
	s_waitcnt vmcnt(1)
	global_store_dword v[6:7], v10, off
	s_waitcnt vmcnt(1)
	global_store_dword v[8:9], v11, off
	s_andn2_b64 exec, exec, s[6:7]
	s_cbranch_execnz .LBB5_9
.LBB5_10:
	s_endpgm
	.section	.rodata,"a",@progbits
	.p2align	6, 0x0
	.amdhsa_kernel _ZN9rocsolver6v33100L11swap_kernelIfiEEvT0_PT_S2_S4_S2_
		.amdhsa_group_segment_fixed_size 0
		.amdhsa_private_segment_fixed_size 0
		.amdhsa_kernarg_size 296
		.amdhsa_user_sgpr_count 6
		.amdhsa_user_sgpr_private_segment_buffer 1
		.amdhsa_user_sgpr_dispatch_ptr 0
		.amdhsa_user_sgpr_queue_ptr 0
		.amdhsa_user_sgpr_kernarg_segment_ptr 1
		.amdhsa_user_sgpr_dispatch_id 0
		.amdhsa_user_sgpr_flat_scratch_init 0
		.amdhsa_user_sgpr_private_segment_size 0
		.amdhsa_uses_dynamic_stack 0
		.amdhsa_system_sgpr_private_segment_wavefront_offset 0
		.amdhsa_system_sgpr_workgroup_id_x 1
		.amdhsa_system_sgpr_workgroup_id_y 0
		.amdhsa_system_sgpr_workgroup_id_z 0
		.amdhsa_system_sgpr_workgroup_info 0
		.amdhsa_system_vgpr_workitem_id 0
		.amdhsa_next_free_vgpr 12
		.amdhsa_next_free_sgpr 17
		.amdhsa_reserve_vcc 1
		.amdhsa_reserve_flat_scratch 0
		.amdhsa_float_round_mode_32 0
		.amdhsa_float_round_mode_16_64 0
		.amdhsa_float_denorm_mode_32 3
		.amdhsa_float_denorm_mode_16_64 3
		.amdhsa_dx10_clamp 1
		.amdhsa_ieee_mode 1
		.amdhsa_fp16_overflow 0
		.amdhsa_exception_fp_ieee_invalid_op 0
		.amdhsa_exception_fp_denorm_src 0
		.amdhsa_exception_fp_ieee_div_zero 0
		.amdhsa_exception_fp_ieee_overflow 0
		.amdhsa_exception_fp_ieee_underflow 0
		.amdhsa_exception_fp_ieee_inexact 0
		.amdhsa_exception_int_div_zero 0
	.end_amdhsa_kernel
	.section	.text._ZN9rocsolver6v33100L11swap_kernelIfiEEvT0_PT_S2_S4_S2_,"axG",@progbits,_ZN9rocsolver6v33100L11swap_kernelIfiEEvT0_PT_S2_S4_S2_,comdat
.Lfunc_end5:
	.size	_ZN9rocsolver6v33100L11swap_kernelIfiEEvT0_PT_S2_S4_S2_, .Lfunc_end5-_ZN9rocsolver6v33100L11swap_kernelIfiEEvT0_PT_S2_S4_S2_
                                        ; -- End function
	.set _ZN9rocsolver6v33100L11swap_kernelIfiEEvT0_PT_S2_S4_S2_.num_vgpr, 12
	.set _ZN9rocsolver6v33100L11swap_kernelIfiEEvT0_PT_S2_S4_S2_.num_agpr, 0
	.set _ZN9rocsolver6v33100L11swap_kernelIfiEEvT0_PT_S2_S4_S2_.numbered_sgpr, 17
	.set _ZN9rocsolver6v33100L11swap_kernelIfiEEvT0_PT_S2_S4_S2_.num_named_barrier, 0
	.set _ZN9rocsolver6v33100L11swap_kernelIfiEEvT0_PT_S2_S4_S2_.private_seg_size, 0
	.set _ZN9rocsolver6v33100L11swap_kernelIfiEEvT0_PT_S2_S4_S2_.uses_vcc, 1
	.set _ZN9rocsolver6v33100L11swap_kernelIfiEEvT0_PT_S2_S4_S2_.uses_flat_scratch, 0
	.set _ZN9rocsolver6v33100L11swap_kernelIfiEEvT0_PT_S2_S4_S2_.has_dyn_sized_stack, 0
	.set _ZN9rocsolver6v33100L11swap_kernelIfiEEvT0_PT_S2_S4_S2_.has_recursion, 0
	.set _ZN9rocsolver6v33100L11swap_kernelIfiEEvT0_PT_S2_S4_S2_.has_indirect_call, 0
	.section	.AMDGPU.csdata,"",@progbits
; Kernel info:
; codeLenInByte = 460
; TotalNumSgprs: 21
; NumVgprs: 12
; ScratchSize: 0
; MemoryBound: 0
; FloatMode: 240
; IeeeMode: 1
; LDSByteSize: 0 bytes/workgroup (compile time only)
; SGPRBlocks: 2
; VGPRBlocks: 2
; NumSGPRsForWavesPerEU: 21
; NumVGPRsForWavesPerEU: 12
; Occupancy: 10
; WaveLimiterHint : 0
; COMPUTE_PGM_RSRC2:SCRATCH_EN: 0
; COMPUTE_PGM_RSRC2:USER_SGPR: 6
; COMPUTE_PGM_RSRC2:TRAP_HANDLER: 0
; COMPUTE_PGM_RSRC2:TGID_X_EN: 1
; COMPUTE_PGM_RSRC2:TGID_Y_EN: 0
; COMPUTE_PGM_RSRC2:TGID_Z_EN: 0
; COMPUTE_PGM_RSRC2:TIDIG_COMP_CNT: 0
	.text
	.p2align	2                               ; -- Begin function _ZN9rocsolver6v331009run_steqrIffEEviiiPT0_S3_PT_iPiS3_iS2_S2_S2_b
	.type	_ZN9rocsolver6v331009run_steqrIffEEviiiPT0_S3_PT_iPiS3_iS2_S2_S2_b,@function
_ZN9rocsolver6v331009run_steqrIffEEviiiPT0_S3_PT_iPiS3_iS2_S2_S2_b: ; @_ZN9rocsolver6v331009run_steqrIffEEviiiPT0_S3_PT_iPiS3_iS2_S2_S2_b
; %bb.0:
	s_waitcnt vmcnt(0) expcnt(0) lgkmcnt(0)
	v_mov_b32_e32 v23, v1
	v_and_b32_e32 v1, 1, v18
	v_mov_b32_e32 v20, v3
	v_cmp_eq_u32_e64 s[6:7], 1, v1
	v_cmp_eq_u32_e64 s[4:5], 0, v0
	buffer_store_dword v40, off, s[0:3], s32 offset:60 ; 4-byte Folded Spill
	buffer_store_dword v41, off, s[0:3], s32 offset:56 ; 4-byte Folded Spill
	;; [unrolled: 1-line block ×15, first 2 shown]
	buffer_store_dword v63, off, s[0:3], s32 ; 4-byte Folded Spill
	buffer_store_dword v14, off, s[0:3], s32 offset:64 ; 4-byte Folded Spill
	buffer_store_dword v13, off, s[0:3], s32 offset:76 ; 4-byte Folded Spill
	;; [unrolled: 1-line block ×4, first 2 shown]
	s_nop 0
	buffer_store_dword v11, off, s[0:3], s32 offset:180 ; 4-byte Folded Spill
	buffer_store_dword v8, off, s[0:3], s32 offset:92 ; 4-byte Folded Spill
	;; [unrolled: 1-line block ×3, first 2 shown]
	s_and_saveexec_b64 s[8:9], s[4:5]
; %bb.1:
	v_mov_b32_e32 v1, 0
	ds_write2_b32 v1, v1, v1 offset0:3 offset1:7
; %bb.2:
	s_or_b64 exec, exec, s[8:9]
	s_waitcnt vmcnt(0) lgkmcnt(0)
	s_barrier
	buffer_load_dword v1, off, s[0:3], s32 offset:64 ; 4-byte Folded Reload
	v_mov_b32_e32 v25, 0
	ds_read2_b32 v[54:55], v25 offset0:3 offset1:7
	v_add_u32_e32 v30, -1, v2
	s_waitcnt lgkmcnt(0)
	v_cmp_lt_i32_e32 vcc, v54, v2
	s_waitcnt vmcnt(0)
	v_cmp_lt_i32_e64 s[8:9], v55, v1
	s_and_b64 s[8:9], vcc, s[8:9]
	s_and_saveexec_b64 s[16:17], s[8:9]
	s_cbranch_execz .LBB6_223
; %bb.3:
	v_ashrrev_i32_e32 v1, 31, v0
	v_lshlrev_b64 v[10:11], 2, v[0:1]
	buffer_load_dword v1, off, s[0:3], s32 offset:96 ; 4-byte Folded Reload
	v_ashrrev_i32_e32 v3, 31, v2
	v_ashrrev_i32_e32 v31, 31, v30
	v_ashrrev_i32_e32 v24, 31, v23
	s_mov_b32 s20, 0x667f3bcd
	v_lshlrev_b64 v[28:29], 2, v[23:24]
	v_cmp_lt_i32_e64 s[8:9], v0, v2
	s_mov_b64 s[18:19], 0
	s_mov_b32 s60, 0xf800000
	s_mov_b32 s61, 0x4f800000
	;; [unrolled: 1-line block ×3, first 2 shown]
	v_mul_f32_e32 v21, v15, v15
	v_mov_b32_e32 v14, 0x260
                                        ; implicit-def: $vgpr36_vgpr37
                                        ; implicit-def: $vgpr48_vgpr49
                                        ; implicit-def: $vgpr38_vgpr39
	s_waitcnt vmcnt(0)
	v_add_co_u32_e32 v1, vcc, v1, v10
	buffer_store_dword v1, off, s[0:3], s32 offset:100 ; 4-byte Folded Spill
	buffer_load_dword v1, off, s[0:3], s32 offset:92 ; 4-byte Folded Reload
	s_waitcnt vmcnt(0)
	v_addc_co_u32_e32 v1, vcc, v1, v11, vcc
	v_lshlrev_b64 v[10:11], 2, v[2:3]
	buffer_store_dword v1, off, s[0:3], s32 offset:104 ; 4-byte Folded Spill
	v_add_co_u32_e32 v3, vcc, -4, v10
	v_addc_co_u32_e32 v63, vcc, -1, v11, vcc
	v_ashrrev_i32_e32 v10, 31, v9
	v_add_co_u32_e32 v1, vcc, -4, v20
	v_lshlrev_b64 v[26:27], 2, v[9:10]
	buffer_store_dword v1, off, s[0:3], s32 offset:116 ; 4-byte Folded Spill
	v_addc_co_u32_e32 v1, vcc, -1, v4, vcc
	v_sub_co_u32_e32 v22, vcc, 0, v26
	buffer_store_dword v1, off, s[0:3], s32 offset:120 ; 4-byte Folded Spill
	v_subb_co_u32_e32 v1, vcc, 0, v27, vcc
	v_add_co_u32_e32 v7, vcc, -4, v5
	buffer_store_dword v7, off, s[0:3], s32 offset:124 ; 4-byte Folded Spill
	v_addc_co_u32_e32 v7, vcc, -1, v6, vcc
	buffer_store_dword v7, off, s[0:3], s32 offset:128 ; 4-byte Folded Spill
	v_lshlrev_b64 v[7:8], 2, v[30:31]
	buffer_store_dword v7, off, s[0:3], s32 offset:68 ; 4-byte Folded Spill
	s_nop 0
	buffer_store_dword v8, off, s[0:3], s32 offset:72 ; 4-byte Folded Spill
                                        ; implicit-def: $vgpr7
                                        ; kill: killed $vgpr7
                                        ; implicit-def: $vgpr7_vgpr8
                                        ; kill: killed $vgpr7_vgpr8
                                        ; implicit-def: $vgpr7_vgpr8
                                        ; kill: killed $vgpr7_vgpr8
                                        ; implicit-def: $vgpr7_vgpr8
                                        ; implicit-def: $vgpr11
                                        ; kill: killed $vgpr7_vgpr8
                                        ; implicit-def: $vgpr7_vgpr8
                                        ; kill: killed $vgpr7_vgpr8
	buffer_store_dword v30, off, s[0:3], s32 offset:152 ; 4-byte Folded Spill
	s_nop 0
	buffer_store_dword v31, off, s[0:3], s32 offset:156 ; 4-byte Folded Spill
	buffer_store_dword v17, off, s[0:3], s32 offset:160 ; 4-byte Folded Spill
	;; [unrolled: 1-line block ×3, first 2 shown]
	s_branch .LBB6_6
.LBB6_4:                                ;   in Loop: Header=BB6_6 Depth=1
	s_or_b64 exec, exec, s[10:11]
	s_waitcnt vmcnt(0) lgkmcnt(0)
	s_barrier
.LBB6_5:                                ;   in Loop: Header=BB6_6 Depth=1
	buffer_load_dword v7, off, s[0:3], s32 offset:64 ; 4-byte Folded Reload
	ds_read2_b32 v[54:55], v25 offset0:3 offset1:7
	s_waitcnt lgkmcnt(0)
	v_cmp_ge_i32_e32 vcc, v54, v2
	s_waitcnt vmcnt(0)
	v_cmp_ge_i32_e64 s[10:11], v55, v7
	s_or_b64 s[10:11], vcc, s[10:11]
	s_and_b64 s[10:11], exec, s[10:11]
	s_or_b64 s[18:19], s[10:11], s[18:19]
	s_andn2_b64 exec, exec, s[18:19]
	s_cbranch_execz .LBB6_223
.LBB6_6:                                ; =>This Loop Header: Depth=1
                                        ;     Child Loop BB6_121 Depth 2
                                        ;     Child Loop BB6_19 Depth 2
	;; [unrolled: 1-line block ×5, first 2 shown]
                                        ;       Child Loop BB6_49 Depth 3
                                        ;       Child Loop BB6_69 Depth 3
	;; [unrolled: 1-line block ×3, first 2 shown]
                                        ;         Child Loop BB6_117 Depth 4
                                        ;     Child Loop BB6_132 Depth 2
                                        ;       Child Loop BB6_138 Depth 3
                                        ;       Child Loop BB6_158 Depth 3
	;; [unrolled: 1-line block ×3, first 2 shown]
                                        ;         Child Loop BB6_206 Depth 4
                                        ;     Child Loop BB6_216 Depth 2
                                        ;     Child Loop BB6_222 Depth 2
	s_and_saveexec_b64 s[12:13], s[4:5]
	s_cbranch_execz .LBB6_22
; %bb.7:                                ;   in Loop: Header=BB6_6 Depth=1
	v_cmp_gt_i32_e32 vcc, 1, v54
	s_cbranch_vccnz .LBB6_9
; %bb.8:                                ;   in Loop: Header=BB6_6 Depth=1
	v_mov_b32_e32 v55, v25
	v_lshlrev_b64 v[7:8], 2, v[54:55]
	v_add_co_u32_e32 v7, vcc, v5, v7
	v_addc_co_u32_e32 v8, vcc, v6, v8, vcc
	v_add_co_u32_e32 v7, vcc, -4, v7
	v_addc_co_u32_e32 v8, vcc, -1, v8, vcc
	flat_store_dword v[7:8], v25
.LBB6_9:                                ;   in Loop: Header=BB6_6 Depth=1
	v_cmp_ge_i32_e32 vcc, v54, v30
	s_mov_b64 s[10:11], 0
	v_ashrrev_i32_e32 v55, 31, v54
	s_mov_b64 s[14:15], 0
                                        ; implicit-def: $vgpr32_vgpr33
	s_and_saveexec_b64 s[22:23], vcc
	s_xor_b64 s[22:23], exec, s[22:23]
; %bb.10:                               ;   in Loop: Header=BB6_6 Depth=1
	v_mov_b32_e32 v32, v54
	s_mov_b64 s[14:15], exec
	v_mov_b32_e32 v33, v55
; %bb.11:                               ;   in Loop: Header=BB6_6 Depth=1
	s_or_saveexec_b64 s[22:23], s[22:23]
	v_mov_b32_e32 v35, v33
	v_mov_b32_e32 v18, v54
	;; [unrolled: 1-line block ×3, first 2 shown]
	s_xor_b64 exec, exec, s[22:23]
	s_cbranch_execnz .LBB6_119
; %bb.12:                               ;   in Loop: Header=BB6_6 Depth=1
	s_or_b64 exec, exec, s[22:23]
	s_and_saveexec_b64 s[22:23], s[14:15]
	s_cbranch_execnz .LBB6_124
.LBB6_13:                               ;   in Loop: Header=BB6_6 Depth=1
	s_or_b64 exec, exec, s[22:23]
	s_and_saveexec_b64 s[14:15], s[10:11]
	s_cbranch_execz .LBB6_15
.LBB6_14:                               ;   in Loop: Header=BB6_6 Depth=1
	ds_write_b32 v25, v36 offset:4
	flat_store_dword v[48:49], v25
	buffer_load_dword v34, off, s[0:3], s32 offset:168 ; 4-byte Folded Reload
	buffer_load_dword v35, off, s[0:3], s32 offset:172 ; 4-byte Folded Reload
	v_mov_b32_e32 v32, v36
	v_mov_b32_e32 v33, v37
	;; [unrolled: 1-line block ×3, first 2 shown]
.LBB6_15:                               ;   in Loop: Header=BB6_6 Depth=1
	s_or_b64 exec, exec, s[14:15]
	v_lshlrev_b64 v[32:33], 2, v[32:33]
	s_waitcnt vmcnt(0)
	v_lshlrev_b64 v[34:35], 2, v[34:35]
	v_add_co_u32_e32 v32, vcc, v20, v32
	ds_write2_b32 v25, v54, v18 offset1:5
	ds_write_b32 v25, v18 offset:32
	v_addc_co_u32_e32 v33, vcc, v4, v33, vcc
	flat_load_dword v8, v[32:33]
	v_add_co_u32_e32 v32, vcc, v20, v34
	v_add_u32_e32 v7, 1, v18
	v_addc_co_u32_e32 v33, vcc, v4, v35, vcc
	ds_write2_b32 v25, v7, v54 offset0:3 offset1:4
	flat_load_dword v7, v[32:33]
	s_waitcnt vmcnt(0) lgkmcnt(0)
	v_cmp_lt_f32_e64 s[14:15], |v8|, |v7|
	s_and_saveexec_b64 s[10:11], s[14:15]
; %bb.16:                               ;   in Loop: Header=BB6_6 Depth=1
	ds_write2_b32 v25, v18, v54 offset1:5
; %bb.17:                               ;   in Loop: Header=BB6_6 Depth=1
	s_or_b64 exec, exec, s[10:11]
	v_and_b32_e32 v19, 0x7fffffff, v8
	v_cmp_lt_i32_e32 vcc, v54, v18
	s_and_saveexec_b64 s[10:11], vcc
	s_cbranch_execz .LBB6_21
; %bb.18:                               ;   in Loop: Header=BB6_6 Depth=1
	v_add_co_u32_e32 v34, vcc, v5, v34
	v_addc_co_u32_e32 v35, vcc, v6, v35, vcc
	s_mov_b64 s[14:15], 0
.LBB6_19:                               ;   Parent Loop BB6_6 Depth=1
                                        ; =>  This Inner Loop Header: Depth=2
	flat_load_dword v7, v[32:33]
	flat_load_dword v8, v[34:35]
	v_add_co_u32_e32 v34, vcc, 4, v34
	v_addc_co_u32_e32 v35, vcc, 0, v35, vcc
	v_add_co_u32_e32 v32, vcc, 4, v32
	v_add_u32_e32 v54, 1, v54
	v_addc_co_u32_e32 v33, vcc, 0, v33, vcc
	v_cmp_ge_i32_e32 vcc, v54, v18
	s_or_b64 s[14:15], vcc, s[14:15]
	s_waitcnt vmcnt(0) lgkmcnt(0)
	v_max3_f32 v19, v19, |v7|, |v8|
	s_andn2_b64 exec, exec, s[14:15]
	s_cbranch_execnz .LBB6_19
; %bb.20:                               ;   in Loop: Header=BB6_6 Depth=1
	s_or_b64 exec, exec, s[14:15]
.LBB6_21:                               ;   in Loop: Header=BB6_6 Depth=1
	s_or_b64 exec, exec, s[10:11]
	ds_write_b32 v25, v19 offset:24
.LBB6_22:                               ;   in Loop: Header=BB6_6 Depth=1
	s_or_b64 exec, exec, s[12:13]
	s_waitcnt vmcnt(0) lgkmcnt(0)
	s_barrier
	ds_read2_b32 v[33:34], v25 offset0:5 offset1:6
	ds_read_b32 v7, v25
	s_waitcnt lgkmcnt(1)
	v_cmp_eq_f32_e64 s[10:11], 0, v34
	s_waitcnt lgkmcnt(0)
	v_cmp_eq_u32_e32 vcc, v33, v7
	s_or_b64 s[10:11], vcc, s[10:11]
	s_and_b64 vcc, exec, s[10:11]
	s_cbranch_vccnz .LBB6_5
; %bb.23:                               ;   in Loop: Header=BB6_6 Depth=1
	v_cmp_ngt_f32_e32 vcc, v34, v17
	s_and_saveexec_b64 s[10:11], vcc
	s_xor_b64 s[10:11], exec, s[10:11]
	s_cbranch_execz .LBB6_31
; %bb.24:                               ;   in Loop: Header=BB6_6 Depth=1
	v_cmp_lt_f32_e32 vcc, v34, v16
	s_and_saveexec_b64 s[12:13], vcc
	s_cbranch_execz .LBB6_30
; %bb.25:                               ;   in Loop: Header=BB6_6 Depth=1
	v_div_scale_f32 v7, s[14:15], v16, v16, v34
	v_div_scale_f32 v8, vcc, v34, v16, v34
	ds_read2_b32 v[32:33], v25 offset0:4 offset1:8
	v_rcp_f32_e32 v12, v7
	v_fma_f32 v13, -v7, v12, 1.0
	v_fmac_f32_e32 v12, v13, v12
	v_mul_f32_e32 v13, v8, v12
	v_fma_f32 v18, -v7, v13, v8
	v_fmac_f32_e32 v13, v18, v12
	v_fma_f32 v7, -v7, v13, v8
	v_div_fmas_f32 v7, v7, v12, v13
	v_div_fixup_f32 v18, v7, v16, v34
	s_and_saveexec_b64 s[14:15], s[4:5]
	s_cbranch_execz .LBB6_27
; %bb.26:                               ;   in Loop: Header=BB6_6 Depth=1
	s_waitcnt lgkmcnt(0)
	v_ashrrev_i32_e32 v35, 31, v33
	v_mov_b32_e32 v34, v33
	v_lshlrev_b64 v[34:35], 2, v[34:35]
	v_add_co_u32_e32 v34, vcc, v20, v34
	v_addc_co_u32_e32 v35, vcc, v4, v35, vcc
	flat_load_dword v7, v[34:35]
	s_waitcnt vmcnt(0) lgkmcnt(0)
	v_mul_f32_e32 v7, v18, v7
	flat_store_dword v[34:35], v7
.LBB6_27:                               ;   in Loop: Header=BB6_6 Depth=1
	s_or_b64 exec, exec, s[14:15]
	s_waitcnt lgkmcnt(0)
	v_add_u32_e32 v34, v32, v0
	v_cmp_lt_i32_e32 vcc, v34, v33
	s_and_b64 exec, exec, vcc
	s_cbranch_execz .LBB6_30
; %bb.28:                               ;   in Loop: Header=BB6_6 Depth=1
	v_ashrrev_i32_e32 v35, 31, v34
	v_lshlrev_b64 v[52:53], 2, v[34:35]
	s_mov_b64 s[14:15], 0
.LBB6_29:                               ;   Parent Loop BB6_6 Depth=1
                                        ; =>  This Inner Loop Header: Depth=2
	v_add_co_u32_e32 v50, vcc, v20, v52
	v_addc_co_u32_e32 v51, vcc, v4, v53, vcc
	flat_load_dword v7, v[50:51]
	v_add_u32_e32 v34, v34, v23
	s_waitcnt vmcnt(0) lgkmcnt(0)
	v_mul_f32_e32 v7, v18, v7
	flat_store_dword v[50:51], v7
	v_add_co_u32_e32 v50, vcc, v5, v52
	v_addc_co_u32_e32 v51, vcc, v6, v53, vcc
	flat_load_dword v7, v[50:51]
	v_add_co_u32_e32 v52, vcc, v52, v28
	v_addc_co_u32_e32 v53, vcc, v53, v29, vcc
	v_cmp_ge_i32_e32 vcc, v34, v33
	s_or_b64 s[14:15], vcc, s[14:15]
	s_waitcnt vmcnt(0) lgkmcnt(0)
	v_mul_f32_e32 v7, v18, v7
	flat_store_dword v[50:51], v7
	s_andn2_b64 exec, exec, s[14:15]
	s_cbranch_execnz .LBB6_29
.LBB6_30:                               ;   in Loop: Header=BB6_6 Depth=1
	s_or_b64 exec, exec, s[12:13]
                                        ; implicit-def: $vgpr33_vgpr34
.LBB6_31:                               ;   in Loop: Header=BB6_6 Depth=1
	s_andn2_saveexec_b64 s[10:11], s[10:11]
	s_cbranch_execz .LBB6_38
; %bb.32:                               ;   in Loop: Header=BB6_6 Depth=1
	v_div_scale_f32 v7, s[12:13], v17, v17, v34
	v_div_scale_f32 v8, vcc, v34, v17, v34
	ds_read2_b32 v[32:33], v25 offset0:4 offset1:8
	v_rcp_f32_e32 v12, v7
	v_fma_f32 v13, -v7, v12, 1.0
	v_fmac_f32_e32 v12, v13, v12
	v_mul_f32_e32 v13, v8, v12
	v_fma_f32 v18, -v7, v13, v8
	v_fmac_f32_e32 v13, v18, v12
	v_fma_f32 v7, -v7, v13, v8
	v_div_fmas_f32 v7, v7, v12, v13
	v_div_fixup_f32 v18, v7, v17, v34
	s_and_saveexec_b64 s[12:13], s[4:5]
	s_cbranch_execz .LBB6_34
; %bb.33:                               ;   in Loop: Header=BB6_6 Depth=1
	s_waitcnt lgkmcnt(0)
	v_ashrrev_i32_e32 v35, 31, v33
	v_mov_b32_e32 v34, v33
	v_lshlrev_b64 v[34:35], 2, v[34:35]
	v_add_co_u32_e32 v34, vcc, v20, v34
	v_addc_co_u32_e32 v35, vcc, v4, v35, vcc
	flat_load_dword v7, v[34:35]
	s_waitcnt vmcnt(0) lgkmcnt(0)
	v_mul_f32_e32 v7, v18, v7
	flat_store_dword v[34:35], v7
.LBB6_34:                               ;   in Loop: Header=BB6_6 Depth=1
	s_or_b64 exec, exec, s[12:13]
	s_waitcnt lgkmcnt(0)
	v_add_u32_e32 v34, v32, v0
	v_cmp_lt_i32_e32 vcc, v34, v33
	s_and_saveexec_b64 s[12:13], vcc
	s_cbranch_execz .LBB6_37
; %bb.35:                               ;   in Loop: Header=BB6_6 Depth=1
	v_ashrrev_i32_e32 v35, 31, v34
	v_lshlrev_b64 v[52:53], 2, v[34:35]
	s_mov_b64 s[14:15], 0
.LBB6_36:                               ;   Parent Loop BB6_6 Depth=1
                                        ; =>  This Inner Loop Header: Depth=2
	v_add_co_u32_e32 v50, vcc, v20, v52
	v_addc_co_u32_e32 v51, vcc, v4, v53, vcc
	flat_load_dword v7, v[50:51]
	v_add_u32_e32 v34, v34, v23
	s_waitcnt vmcnt(0) lgkmcnt(0)
	v_mul_f32_e32 v7, v18, v7
	flat_store_dword v[50:51], v7
	v_add_co_u32_e32 v50, vcc, v5, v52
	v_addc_co_u32_e32 v51, vcc, v6, v53, vcc
	flat_load_dword v7, v[50:51]
	v_add_co_u32_e32 v52, vcc, v52, v28
	v_addc_co_u32_e32 v53, vcc, v53, v29, vcc
	v_cmp_ge_i32_e32 vcc, v34, v33
	s_or_b64 s[14:15], vcc, s[14:15]
	s_waitcnt vmcnt(0) lgkmcnt(0)
	v_mul_f32_e32 v7, v18, v7
	flat_store_dword v[50:51], v7
	s_andn2_b64 exec, exec, s[14:15]
	s_cbranch_execnz .LBB6_36
.LBB6_37:                               ;   in Loop: Header=BB6_6 Depth=1
	s_or_b64 exec, exec, s[12:13]
.LBB6_38:                               ;   in Loop: Header=BB6_6 Depth=1
	s_or_b64 exec, exec, s[10:11]
	s_waitcnt vmcnt(0) lgkmcnt(0)
	s_barrier
	ds_read2_b32 v[54:55], v25 offset1:5
	ds_read_b32 v41, v25 offset:28
	buffer_load_dword v7, off, s[0:3], s32 offset:64 ; 4-byte Folded Reload
	s_mov_b64 s[12:13], -1
                                        ; implicit-def: $vgpr42_vgpr43
                                        ; implicit-def: $vgpr50
	s_waitcnt lgkmcnt(1)
	v_cmp_lt_i32_e32 vcc, v55, v54
	v_mov_b32_e32 v40, v55
	s_and_b64 vcc, exec, vcc
	s_waitcnt vmcnt(0) lgkmcnt(0)
	v_cmp_lt_i32_e64 s[10:11], v41, v7
                                        ; implicit-def: $vgpr7_vgpr8
                                        ; kill: killed $vgpr7_vgpr8
	s_cbranch_vccnz .LBB6_127
; %bb.39:                               ;   in Loop: Header=BB6_6 Depth=1
	buffer_load_dword v7, off, s[0:3], s32 offset:144 ; 4-byte Folded Reload
	buffer_load_dword v8, off, s[0:3], s32 offset:148 ; 4-byte Folded Reload
	s_waitcnt vmcnt(1)
	buffer_store_dword v7, off, s[0:3], s32 offset:84 ; 4-byte Folded Spill
	s_waitcnt vmcnt(1)
	buffer_store_dword v8, off, s[0:3], s32 offset:88 ; 4-byte Folded Spill
	buffer_load_dword v42, off, s[0:3], s32 offset:136 ; 4-byte Folded Reload
	buffer_load_dword v43, off, s[0:3], s32 offset:140 ; 4-byte Folded Reload
	;; [unrolled: 1-line block ×3, first 2 shown]
	s_and_saveexec_b64 s[22:23], s[10:11]
	s_cbranch_execz .LBB6_126
; %bb.40:                               ;   in Loop: Header=BB6_6 Depth=1
	buffer_load_dword v50, off, s[0:3], s32 offset:132 ; 4-byte Folded Reload
	buffer_load_dword v42, off, s[0:3], s32 offset:136 ; 4-byte Folded Reload
	;; [unrolled: 1-line block ×5, first 2 shown]
	s_mov_b64 s[24:25], 0
	v_mov_b32_e32 v33, v41
	v_mov_b32_e32 v32, v40
	;; [unrolled: 1-line block ×3, first 2 shown]
	s_waitcnt vmcnt(1)
	buffer_store_dword v7, off, s[0:3], s32 offset:84 ; 4-byte Folded Spill
	s_waitcnt vmcnt(1)
	buffer_store_dword v8, off, s[0:3], s32 offset:88 ; 4-byte Folded Spill
	s_branch .LBB6_43
.LBB6_41:                               ;   in Loop: Header=BB6_43 Depth=2
	s_or_b64 exec, exec, s[26:27]
	s_waitcnt vmcnt(0) lgkmcnt(0)
	s_barrier
	ds_read_b32 v34, v25
.LBB6_42:                               ;   in Loop: Header=BB6_43 Depth=2
	buffer_load_dword v7, off, s[0:3], s32 offset:64 ; 4-byte Folded Reload
	ds_read2_b32 v[32:33], v25 offset0:5 offset1:7
	s_waitcnt lgkmcnt(1)
	v_mov_b32_e32 v46, v34
	s_waitcnt lgkmcnt(0)
	v_cmp_gt_i32_e32 vcc, v34, v32
	s_waitcnt vmcnt(0)
	v_cmp_ge_i32_e64 s[12:13], v33, v7
	s_or_b64 s[12:13], vcc, s[12:13]
	s_and_b64 s[12:13], exec, s[12:13]
	s_or_b64 s[24:25], s[12:13], s[24:25]
	s_andn2_b64 exec, exec, s[24:25]
	s_cbranch_execz .LBB6_125
.LBB6_43:                               ;   Parent Loop BB6_6 Depth=1
                                        ; =>  This Loop Header: Depth=2
                                        ;       Child Loop BB6_49 Depth 3
                                        ;       Child Loop BB6_69 Depth 3
                                        ;       Child Loop BB6_116 Depth 3
                                        ;         Child Loop BB6_117 Depth 4
	s_and_saveexec_b64 s[26:27], s[4:5]
	s_cbranch_execz .LBB6_112
; %bb.44:                               ;   in Loop: Header=BB6_43 Depth=2
	v_cmp_lt_i32_e32 vcc, v46, v32
	s_mov_b64 s[14:15], 0
	s_cbranch_vccnz .LBB6_46
; %bb.45:                               ;   in Loop: Header=BB6_43 Depth=2
	v_ashrrev_i32_e32 v47, 31, v46
	v_mov_b32_e32 v34, v46
	s_mov_b64 s[12:13], -1
	v_mov_b32_e32 v35, v47
	v_mov_b32_e32 v57, v46
	s_cbranch_execz .LBB6_47
	s_branch .LBB6_52
.LBB6_46:                               ;   in Loop: Header=BB6_43 Depth=2
                                        ; implicit-def: $vgpr34_vgpr35
	s_mov_b64 s[12:13], 0
	v_mov_b32_e32 v57, v46
.LBB6_47:                               ;   in Loop: Header=BB6_43 Depth=2
	v_ashrrev_i32_e32 v47, 31, v46
	v_lshlrev_b64 v[17:18], 2, v[46:47]
                                        ; implicit-def: $sgpr12_sgpr13
                                        ; implicit-def: $sgpr40_sgpr41
                                        ; implicit-def: $sgpr28_sgpr29
	v_add_co_u32_e32 v34, vcc, v20, v17
	v_addc_co_u32_e32 v35, vcc, v4, v18, vcc
	v_add_co_u32_e32 v52, vcc, v5, v17
	v_addc_co_u32_e32 v53, vcc, v6, v18, vcc
	v_mov_b32_e32 v18, v46
	s_branch .LBB6_49
.LBB6_48:                               ;   in Loop: Header=BB6_49 Depth=3
	s_or_b64 exec, exec, s[42:43]
	s_xor_b64 s[42:43], s[28:29], -1
	s_and_b64 s[44:45], exec, s[40:41]
	s_or_b64 s[14:15], s[44:45], s[14:15]
	s_andn2_b64 s[12:13], s[12:13], exec
	s_and_b64 s[42:43], s[42:43], exec
	s_or_b64 s[12:13], s[12:13], s[42:43]
	s_andn2_b64 exec, exec, s[14:15]
	s_cbranch_execz .LBB6_51
.LBB6_49:                               ;   Parent Loop BB6_6 Depth=1
                                        ;     Parent Loop BB6_43 Depth=2
                                        ; =>    This Inner Loop Header: Depth=3
	v_mov_b32_e32 v42, v52
	v_mov_b32_e32 v43, v53
	flat_load_dwordx2 v[51:52], v[34:35]
	flat_load_dword v7, v[42:43]
	v_mov_b32_e32 v50, v18
	s_or_b64 s[28:29], s[28:29], exec
	s_or_b64 s[40:41], s[40:41], exec
                                        ; implicit-def: $vgpr18
	s_waitcnt vmcnt(0) lgkmcnt(0)
	v_mul_f32_e32 v8, v51, v52
	v_mul_f32_e32 v7, v7, v7
	v_mul_f32_e64 v8, v21, |v8|
	v_cmp_nle_f32_e64 s[44:45], |v7|, v8
                                        ; implicit-def: $vgpr52_vgpr53
	s_and_saveexec_b64 s[42:43], s[44:45]
	s_cbranch_execz .LBB6_48
; %bb.50:                               ;   in Loop: Header=BB6_49 Depth=3
	v_add_co_u32_e32 v34, vcc, 4, v34
	v_addc_co_u32_e32 v35, vcc, 0, v35, vcc
	v_add_co_u32_e32 v52, vcc, 4, v42
	v_add_u32_e32 v18, 1, v50
	v_addc_co_u32_e32 v53, vcc, 0, v43, vcc
	v_cmp_ge_i32_e32 vcc, v18, v32
	s_andn2_b64 s[40:41], s[40:41], exec
	s_and_b64 s[44:45], vcc, exec
	s_andn2_b64 s[28:29], s[28:29], exec
	s_or_b64 s[40:41], s[40:41], s[44:45]
	s_branch .LBB6_48
.LBB6_51:                               ;   in Loop: Header=BB6_43 Depth=2
	s_or_b64 exec, exec, s[14:15]
	buffer_store_dword v46, off, s[0:3], s32 offset:84 ; 4-byte Folded Spill
	s_nop 0
	buffer_store_dword v47, off, s[0:3], s32 offset:88 ; 4-byte Folded Spill
	s_mov_b64 s[14:15], -1
	v_mov_b32_e32 v57, v32
	v_mov_b32_e32 v34, v46
	;; [unrolled: 1-line block ×3, first 2 shown]
.LBB6_52:                               ;   in Loop: Header=BB6_43 Depth=2
	s_and_saveexec_b64 s[28:29], s[12:13]
	s_cbranch_execnz .LBB6_81
; %bb.53:                               ;   in Loop: Header=BB6_43 Depth=2
	s_or_b64 exec, exec, s[28:29]
	s_and_saveexec_b64 s[12:13], s[14:15]
	s_cbranch_execz .LBB6_55
.LBB6_54:                               ;   in Loop: Header=BB6_43 Depth=2
	ds_write2_b32 v25, v50, v46 offset0:1 offset1:4
	flat_store_dword v[42:43], v25
	buffer_load_dword v34, off, s[0:3], s32 offset:84 ; 4-byte Folded Reload
	buffer_load_dword v35, off, s[0:3], s32 offset:88 ; 4-byte Folded Reload
	v_mov_b32_e32 v57, v50
.LBB6_55:                               ;   in Loop: Header=BB6_43 Depth=2
	s_or_b64 exec, exec, s[12:13]
	s_waitcnt vmcnt(0)
	v_lshlrev_b64 v[59:60], 2, v[34:35]
	v_add_co_u32_e32 v55, vcc, v20, v59
	v_addc_co_u32_e32 v56, vcc, v4, v60, vcc
	flat_load_dword v34, v[55:56]
	v_cmp_ne_u32_e32 vcc, v57, v46
	s_waitcnt vmcnt(0) lgkmcnt(0)
	ds_write_b32 v25, v34 offset:8
	s_and_saveexec_b64 s[12:13], vcc
	s_xor_b64 s[28:29], exec, s[12:13]
	s_cbranch_execz .LBB6_109
; %bb.56:                               ;   in Loop: Header=BB6_43 Depth=2
	v_add_u32_e32 v7, 1, v46
	v_cmp_ne_u32_e32 vcc, v57, v7
	s_and_saveexec_b64 s[12:13], vcc
	s_xor_b64 s[40:41], exec, s[12:13]
	s_cbranch_execz .LBB6_85
; %bb.57:                               ;   in Loop: Header=BB6_43 Depth=2
	v_add_co_u32_e32 v59, vcc, v5, v59
	v_addc_co_u32_e32 v60, vcc, v6, v60, vcc
	flat_load_dword v7, v[55:56] offset:4
	flat_load_dword v24, v[59:60]
	v_ashrrev_i32_e32 v58, 31, v57
	v_add_u32_e32 v35, 1, v33
	v_mov_b32_e32 v51, 0
	s_waitcnt vmcnt(0) lgkmcnt(0)
	v_sub_f32_e32 v7, v7, v34
	v_add_f32_e32 v8, v24, v24
	v_div_scale_f32 v12, s[12:13], v8, v8, v7
	v_rcp_f32_e32 v13, v12
	v_fma_f32 v16, -v12, v13, 1.0
	v_fmac_f32_e32 v13, v16, v13
	v_div_scale_f32 v16, vcc, v7, v8, v7
	v_mul_f32_e32 v17, v16, v13
	v_fma_f32 v18, -v12, v17, v16
	v_fmac_f32_e32 v17, v18, v13
	v_fma_f32 v12, -v12, v17, v16
	v_div_fmas_f32 v12, v12, v13, v17
	v_div_fixup_f32 v18, v12, v8, v7
	v_fma_f32 v7, v18, v18, 1.0
	v_cmp_gt_f32_e64 s[12:13], s60, v7
	v_mul_f32_e32 v8, 0x4f800000, v7
	v_cndmask_b32_e64 v7, v7, v8, s[12:13]
	v_sqrt_f32_e32 v8, v7
	v_cmp_nle_f32_e32 vcc, 0, v18
	v_add_u32_e32 v12, -1, v8
	v_fma_f32 v13, -v12, v8, v7
	v_cmp_ge_f32_e64 s[14:15], 0, v13
	v_add_u32_e32 v13, 1, v8
	v_cndmask_b32_e64 v12, v8, v12, s[14:15]
	v_fma_f32 v8, -v13, v8, v7
	v_cmp_lt_f32_e64 s[14:15], 0, v8
	v_cndmask_b32_e64 v8, v12, v13, s[14:15]
	v_mul_f32_e32 v12, 0x37800000, v8
	v_cndmask_b32_e64 v8, v8, v12, s[12:13]
	v_cmp_class_f32_e64 s[12:13], v7, v14
	v_cndmask_b32_e64 v7, v8, v7, s[12:13]
	v_cndmask_b32_e64 v52, |v7|, -|v7|, vcc
	v_lshlrev_b64 v[7:8], 2, v[57:58]
	v_add_co_u32_e32 v32, vcc, v20, v7
	v_addc_co_u32_e32 v33, vcc, v4, v8, vcc
	flat_load_dword v7, v[32:33]
	v_add_f32_e32 v8, v18, v52
	v_div_scale_f32 v12, s[12:13], v8, v8, v24
	ds_write2_b32 v25, v25, v35 offset0:2 offset1:7
	v_rcp_f32_e32 v13, v12
	v_fma_f32 v16, -v12, v13, 1.0
	v_fmac_f32_e32 v13, v16, v13
	v_div_scale_f32 v16, vcc, v24, v8, v24
	v_mul_f32_e32 v17, v16, v13
	v_fma_f32 v18, -v12, v17, v16
	v_fmac_f32_e32 v17, v18, v13
	v_fma_f32 v12, -v12, v17, v16
	v_div_fmas_f32 v12, v12, v13, v17
	v_cmp_gt_i32_e32 vcc, v57, v46
	v_div_fixup_f32 v8, v12, v8, v24
	s_waitcnt vmcnt(0) lgkmcnt(0)
	v_sub_f32_e32 v7, v7, v34
	v_add_f32_e32 v17, v7, v8
	s_and_saveexec_b64 s[14:15], vcc
	s_cbranch_execz .LBB6_84
; %bb.58:                               ;   in Loop: Header=BB6_43 Depth=2
	v_add_u32_e32 v52, -1, v57
	v_ashrrev_i32_e32 v53, 31, v52
	v_lshlrev_b64 v[34:35], 2, v[52:53]
	v_mov_b32_e32 v18, 0
	v_add_co_u32_e32 v61, vcc, v5, v34
	v_addc_co_u32_e32 v62, vcc, v6, v35, vcc
	flat_load_dword v53, v[61:62]
	v_mov_b32_e32 v51, 1.0
	s_waitcnt vmcnt(0) lgkmcnt(0)
	v_cmp_neq_f32_e32 vcc, 0, v53
	s_and_saveexec_b64 s[42:43], vcc
	s_cbranch_execz .LBB6_66
; %bb.59:                               ;   in Loop: Header=BB6_43 Depth=2
	v_mov_b32_e32 v51, 0
	v_cmp_neq_f32_e32 vcc, 0, v17
	v_mov_b32_e32 v18, 1.0
	s_and_saveexec_b64 s[44:45], vcc
	s_cbranch_execz .LBB6_65
; %bb.60:                               ;   in Loop: Header=BB6_43 Depth=2
	v_cmp_ngt_f32_e64 s[12:13], |v53|, |v17|
                                        ; implicit-def: $vgpr18
                                        ; implicit-def: $vgpr51
	s_and_saveexec_b64 s[46:47], s[12:13]
	s_xor_b64 s[46:47], exec, s[46:47]
	s_cbranch_execz .LBB6_62
; %bb.61:                               ;   in Loop: Header=BB6_43 Depth=2
	v_div_scale_f32 v7, s[12:13], v17, v17, -v53
	v_div_scale_f32 v8, vcc, -v53, v17, -v53
	v_rcp_f32_e32 v12, v7
	v_fma_f32 v13, -v7, v12, 1.0
	v_fmac_f32_e32 v12, v13, v12
	v_mul_f32_e32 v13, v8, v12
	v_fma_f32 v16, -v7, v13, v8
	v_fmac_f32_e32 v13, v16, v12
	v_fma_f32 v7, -v7, v13, v8
	v_div_fmas_f32 v7, v7, v12, v13
	v_div_fixup_f32 v7, v7, v17, -v53
	v_fma_f32 v8, v7, v7, 1.0
	v_mul_f32_e32 v12, 0x4f800000, v8
	v_cmp_gt_f32_e32 vcc, s60, v8
	v_cndmask_b32_e32 v8, v8, v12, vcc
	v_sqrt_f32_e32 v12, v8
	v_add_u32_e32 v13, -1, v12
	v_add_u32_e32 v16, 1, v12
	v_fma_f32 v17, -v13, v12, v8
	v_fma_f32 v18, -v16, v12, v8
	v_cmp_ge_f32_e64 s[12:13], 0, v17
	v_cndmask_b32_e64 v12, v12, v13, s[12:13]
	v_cmp_lt_f32_e64 s[12:13], 0, v18
	v_cndmask_b32_e64 v12, v12, v16, s[12:13]
	v_mul_f32_e32 v13, 0x37800000, v12
	v_cndmask_b32_e32 v12, v12, v13, vcc
	v_cmp_class_f32_e32 vcc, v8, v14
	v_cndmask_b32_e32 v8, v12, v8, vcc
	v_div_scale_f32 v12, s[12:13], v8, v8, 1.0
	v_div_scale_f32 v13, vcc, 1.0, v8, 1.0
	v_rcp_f32_e32 v16, v12
	v_fma_f32 v17, -v12, v16, 1.0
	v_fmac_f32_e32 v16, v17, v16
	v_mul_f32_e32 v17, v13, v16
	v_fma_f32 v18, -v12, v17, v13
	v_fmac_f32_e32 v17, v18, v16
	v_fma_f32 v12, -v12, v17, v13
	v_div_fmas_f32 v12, v12, v16, v17
                                        ; implicit-def: $vgpr17
	v_div_fixup_f32 v51, v12, v8, 1.0
	v_mul_f32_e32 v18, v7, v51
.LBB6_62:                               ;   in Loop: Header=BB6_43 Depth=2
	s_andn2_saveexec_b64 s[46:47], s[46:47]
	s_cbranch_execz .LBB6_64
; %bb.63:                               ;   in Loop: Header=BB6_43 Depth=2
	v_div_scale_f32 v7, s[12:13], v53, v53, -v17
	v_div_scale_f32 v8, vcc, -v17, v53, -v17
	v_rcp_f32_e32 v12, v7
	v_fma_f32 v13, -v7, v12, 1.0
	v_fmac_f32_e32 v12, v13, v12
	v_mul_f32_e32 v13, v8, v12
	v_fma_f32 v16, -v7, v13, v8
	v_fmac_f32_e32 v13, v16, v12
	v_fma_f32 v7, -v7, v13, v8
	v_div_fmas_f32 v7, v7, v12, v13
	v_div_fixup_f32 v7, v7, v53, -v17
	v_fma_f32 v8, v7, v7, 1.0
	v_mul_f32_e32 v12, 0x4f800000, v8
	v_cmp_gt_f32_e32 vcc, s60, v8
	v_cndmask_b32_e32 v8, v8, v12, vcc
	v_sqrt_f32_e32 v12, v8
	v_add_u32_e32 v13, -1, v12
	v_add_u32_e32 v16, 1, v12
	v_fma_f32 v17, -v13, v12, v8
	v_fma_f32 v18, -v16, v12, v8
	v_cmp_ge_f32_e64 s[12:13], 0, v17
	v_cndmask_b32_e64 v12, v12, v13, s[12:13]
	v_cmp_lt_f32_e64 s[12:13], 0, v18
	v_cndmask_b32_e64 v12, v12, v16, s[12:13]
	v_mul_f32_e32 v13, 0x37800000, v12
	v_cndmask_b32_e32 v12, v12, v13, vcc
	v_cmp_class_f32_e32 vcc, v8, v14
	v_cndmask_b32_e32 v8, v12, v8, vcc
	v_div_scale_f32 v12, s[12:13], v8, v8, 1.0
	v_div_scale_f32 v13, vcc, 1.0, v8, 1.0
	v_rcp_f32_e32 v16, v12
	v_fma_f32 v17, -v12, v16, 1.0
	v_fmac_f32_e32 v16, v17, v16
	v_mul_f32_e32 v17, v13, v16
	v_fma_f32 v18, -v12, v17, v13
	v_fmac_f32_e32 v17, v18, v16
	v_fma_f32 v12, -v12, v17, v13
	v_div_fmas_f32 v12, v12, v16, v17
	v_div_fixup_f32 v18, v12, v8, 1.0
	v_mul_f32_e32 v51, v7, v18
.LBB6_64:                               ;   in Loop: Header=BB6_43 Depth=2
	s_or_b64 exec, exec, s[46:47]
.LBB6_65:                               ;   in Loop: Header=BB6_43 Depth=2
	s_or_b64 exec, exec, s[44:45]
.LBB6_66:                               ;   in Loop: Header=BB6_43 Depth=2
	s_or_b64 exec, exec, s[42:43]
	v_add_co_u32_e32 v7, vcc, -4, v32
	v_addc_co_u32_e32 v8, vcc, -1, v33, vcc
	flat_load_dwordx2 v[7:8], v[7:8]
	v_add_f32_e32 v12, v51, v51
	s_waitcnt vmcnt(0) lgkmcnt(0)
	v_sub_f32_e32 v7, v7, v8
	v_mul_f32_e32 v7, v18, v7
	v_fma_f32 v7, v53, v12, -v7
	v_mul_f32_e64 v12, v7, -v18
	v_fma_f32 v8, v7, -v18, v8
	v_fma_f32 v17, v51, v7, -v53
	buffer_load_dword v7, off, s[0:3], s32 offset:80 ; 4-byte Folded Reload
	ds_write_b32 v25, v12 offset:8
	flat_store_dword v[32:33], v8
	buffer_load_dword v8, off, s[0:3], s32 offset:76 ; 4-byte Folded Reload
	s_waitcnt vmcnt(0)
	v_add_co_u32_e32 v7, vcc, v7, v34
	v_addc_co_u32_e32 v8, vcc, v8, v35, vcc
	flat_store_dword v[7:8], v51
	buffer_load_dword v12, off, s[0:3], s32 offset:68 ; 4-byte Folded Reload
	buffer_load_dword v13, off, s[0:3], s32 offset:72 ; 4-byte Folded Reload
	s_waitcnt vmcnt(0)
	v_add_co_u32_e32 v7, vcc, v7, v12
	v_addc_co_u32_e32 v8, vcc, v8, v13, vcc
	v_cmp_gt_i32_e32 vcc, v52, v46
	flat_store_dword v[7:8], v18
	s_and_saveexec_b64 s[42:43], vcc
	s_cbranch_execz .LBB6_83
; %bb.67:                               ;   in Loop: Header=BB6_43 Depth=2
	buffer_load_dword v7, off, s[0:3], s32 offset:116 ; 4-byte Folded Reload
	buffer_load_dword v12, off, s[0:3], s32 offset:80 ; 4-byte Folded Reload
	v_xor_b32_e32 v18, 0x80000000, v18
	s_mov_b32 s62, -1
	s_mov_b64 s[44:45], 0
	s_waitcnt vmcnt(0)
	v_add_co_u32_e32 v52, vcc, v7, v34
	buffer_load_dword v7, off, s[0:3], s32 offset:120 ; 4-byte Folded Reload
	s_waitcnt vmcnt(0)
	v_addc_co_u32_e32 v53, vcc, v7, v35, vcc
	v_add_u32_e32 v7, -2, v57
	v_ashrrev_i32_e32 v8, 31, v7
	v_lshlrev_b64 v[7:8], 2, v[7:8]
	v_add_co_u32_e32 v32, vcc, v12, v7
	buffer_load_dword v12, off, s[0:3], s32 offset:76 ; 4-byte Folded Reload
	s_waitcnt vmcnt(0)
	v_addc_co_u32_e32 v33, vcc, v12, v8, vcc
	v_add_co_u32_e32 v34, vcc, v5, v7
	v_addc_co_u32_e32 v35, vcc, v6, v8, vcc
	s_branch .LBB6_69
.LBB6_68:                               ;   in Loop: Header=BB6_69 Depth=3
	flat_load_dwordx2 v[7:8], v[52:53]
	ds_read_b32 v13, v25 offset:8
	v_mul_f32_e32 v12, v51, v47
	s_add_i32 s62, s62, -1
	v_xor_b32_e32 v18, 0x80000000, v19
	v_mov_b32_e32 v51, v58
	s_waitcnt vmcnt(0) lgkmcnt(0)
	v_sub_f32_e32 v8, v8, v13
	v_sub_f32_e32 v7, v7, v8
	v_add_f32_e32 v13, v58, v58
	v_mul_f32_e32 v7, v19, v7
	v_fma_f32 v7, v12, v13, -v7
	v_mul_f32_e64 v13, v7, -v19
	v_fma_f32 v8, v7, -v19, v8
	ds_write_b32 v25, v13 offset:8
	flat_store_dword v[52:53], v8 offset:4
	flat_store_dword v[32:33], v58
	v_fma_f32 v17, v58, v7, -v12
	buffer_load_dword v7, off, s[0:3], s32 offset:68 ; 4-byte Folded Reload
	buffer_load_dword v8, off, s[0:3], s32 offset:72 ; 4-byte Folded Reload
	s_waitcnt vmcnt(0)
	v_add_co_u32_e32 v7, vcc, v32, v7
	v_addc_co_u32_e32 v8, vcc, v33, v8, vcc
	v_add_co_u32_e32 v52, vcc, -4, v52
	v_addc_co_u32_e32 v53, vcc, -1, v53, vcc
	v_add_co_u32_e32 v61, vcc, -4, v61
	v_addc_co_u32_e32 v62, vcc, -1, v62, vcc
	;; [unrolled: 2-line block ×3, first 2 shown]
	v_add_co_u32_e32 v34, vcc, -4, v34
	flat_store_dword v[7:8], v19
	v_addc_co_u32_e32 v35, vcc, -1, v35, vcc
	v_add_u32_e32 v7, s62, v57
	v_cmp_le_i32_e32 vcc, v7, v46
	s_or_b64 s[44:45], vcc, s[44:45]
	s_andn2_b64 exec, exec, s[44:45]
	s_cbranch_execz .LBB6_82
.LBB6_69:                               ;   Parent Loop BB6_6 Depth=1
                                        ;     Parent Loop BB6_43 Depth=2
                                        ; =>    This Inner Loop Header: Depth=3
	flat_load_dword v47, v[34:35]
	v_mov_b32_e32 v19, 0
	v_mov_b32_e32 v58, 1.0
	s_waitcnt vmcnt(0) lgkmcnt(0)
	v_mul_f32_e32 v18, v18, v47
	v_cmp_neq_f32_e32 vcc, 0, v18
	s_and_saveexec_b64 s[46:47], vcc
	s_cbranch_execz .LBB6_79
; %bb.70:                               ;   in Loop: Header=BB6_69 Depth=3
	v_cmp_neq_f32_e32 vcc, 0, v17
	v_xor_b32_e32 v24, 0x80000000, v18
                                        ; implicit-def: $vgpr19
                                        ; implicit-def: $vgpr58
	s_and_saveexec_b64 s[12:13], vcc
	s_xor_b64 s[56:57], exec, s[12:13]
	s_cbranch_execz .LBB6_76
; %bb.71:                               ;   in Loop: Header=BB6_69 Depth=3
	v_cmp_ngt_f32_e64 s[12:13], |v18|, |v17|
                                        ; implicit-def: $vgpr19
                                        ; implicit-def: $vgpr58
	s_and_saveexec_b64 s[58:59], s[12:13]
	s_xor_b64 s[58:59], exec, s[58:59]
	s_cbranch_execz .LBB6_73
; %bb.72:                               ;   in Loop: Header=BB6_69 Depth=3
	v_div_scale_f32 v7, s[12:13], v17, v17, -v18
	v_div_scale_f32 v8, vcc, -v18, v17, -v18
	v_rcp_f32_e32 v12, v7
	v_fma_f32 v13, -v7, v12, 1.0
	v_fmac_f32_e32 v12, v13, v12
	v_mul_f32_e32 v13, v8, v12
	v_fma_f32 v16, -v7, v13, v8
	v_fmac_f32_e32 v13, v16, v12
	v_fma_f32 v7, -v7, v13, v8
	v_div_fmas_f32 v7, v7, v12, v13
	v_div_fixup_f32 v7, v7, v17, -v18
	v_fma_f32 v8, v7, v7, 1.0
	v_mul_f32_e32 v12, 0x4f800000, v8
	v_cmp_gt_f32_e32 vcc, s60, v8
	v_cndmask_b32_e32 v8, v8, v12, vcc
	v_sqrt_f32_e32 v12, v8
	v_add_u32_e32 v13, -1, v12
	v_add_u32_e32 v16, 1, v12
	v_fma_f32 v19, -v13, v12, v8
	v_fma_f32 v24, -v16, v12, v8
	v_cmp_ge_f32_e64 s[12:13], 0, v19
	v_cndmask_b32_e64 v12, v12, v13, s[12:13]
	v_cmp_lt_f32_e64 s[12:13], 0, v24
	v_cndmask_b32_e64 v12, v12, v16, s[12:13]
	v_mul_f32_e32 v13, 0x37800000, v12
	v_cndmask_b32_e32 v12, v12, v13, vcc
	v_cmp_class_f32_e32 vcc, v8, v14
	v_cndmask_b32_e32 v8, v12, v8, vcc
	v_div_scale_f32 v12, s[12:13], v8, v8, 1.0
	v_div_scale_f32 v13, vcc, 1.0, v8, 1.0
	v_rcp_f32_e32 v16, v12
	v_fma_f32 v19, -v12, v16, 1.0
	v_fmac_f32_e32 v16, v19, v16
	v_mul_f32_e32 v19, v13, v16
	v_fma_f32 v24, -v12, v19, v13
	v_fmac_f32_e32 v19, v24, v16
	v_fma_f32 v12, -v12, v19, v13
	v_div_fmas_f32 v12, v12, v16, v19
	v_div_fixup_f32 v58, v12, v8, 1.0
	v_mul_f32_e32 v19, v7, v58
.LBB6_73:                               ;   in Loop: Header=BB6_69 Depth=3
	s_andn2_saveexec_b64 s[58:59], s[58:59]
	s_cbranch_execz .LBB6_75
; %bb.74:                               ;   in Loop: Header=BB6_69 Depth=3
	v_div_scale_f32 v7, s[12:13], v18, v18, -v17
	v_div_scale_f32 v8, vcc, -v17, v18, -v17
	v_rcp_f32_e32 v12, v7
	v_fma_f32 v13, -v7, v12, 1.0
	v_fmac_f32_e32 v12, v13, v12
	v_mul_f32_e32 v13, v8, v12
	v_fma_f32 v16, -v7, v13, v8
	v_fmac_f32_e32 v13, v16, v12
	v_fma_f32 v7, -v7, v13, v8
	v_div_fmas_f32 v7, v7, v12, v13
	v_div_fixup_f32 v7, v7, v18, -v17
	v_fma_f32 v8, v7, v7, 1.0
	v_mul_f32_e32 v12, 0x4f800000, v8
	v_cmp_gt_f32_e32 vcc, s60, v8
	v_cndmask_b32_e32 v8, v8, v12, vcc
	v_sqrt_f32_e32 v12, v8
	v_add_u32_e32 v13, -1, v12
	v_add_u32_e32 v16, 1, v12
	v_fma_f32 v19, -v13, v12, v8
	v_fma_f32 v24, -v16, v12, v8
	v_cmp_ge_f32_e64 s[12:13], 0, v19
	v_cndmask_b32_e64 v12, v12, v13, s[12:13]
	v_cmp_lt_f32_e64 s[12:13], 0, v24
	v_cndmask_b32_e64 v12, v12, v16, s[12:13]
	v_mul_f32_e32 v13, 0x37800000, v12
	v_cndmask_b32_e32 v12, v12, v13, vcc
	v_cmp_class_f32_e32 vcc, v8, v14
	v_cndmask_b32_e32 v8, v12, v8, vcc
	v_div_scale_f32 v12, s[12:13], v8, v8, 1.0
	v_div_scale_f32 v13, vcc, 1.0, v8, 1.0
	v_rcp_f32_e32 v16, v12
	v_fma_f32 v19, -v12, v16, 1.0
	v_fmac_f32_e32 v16, v19, v16
	v_mul_f32_e32 v19, v13, v16
	v_fma_f32 v24, -v12, v19, v13
	v_fmac_f32_e32 v19, v24, v16
	v_fma_f32 v12, -v12, v19, v13
	v_div_fmas_f32 v12, v12, v16, v19
	v_div_fixup_f32 v19, v12, v8, 1.0
	v_mul_f32_e32 v58, v7, v19
.LBB6_75:                               ;   in Loop: Header=BB6_69 Depth=3
	s_or_b64 exec, exec, s[58:59]
	v_mul_f32_e32 v7, v18, v19
	v_fma_f32 v24, v17, v58, -v7
.LBB6_76:                               ;   in Loop: Header=BB6_69 Depth=3
	s_andn2_saveexec_b64 s[12:13], s[56:57]
; %bb.77:                               ;   in Loop: Header=BB6_69 Depth=3
	v_mov_b32_e32 v58, 0
	v_mov_b32_e32 v19, 1.0
; %bb.78:                               ;   in Loop: Header=BB6_69 Depth=3
	s_or_b64 exec, exec, s[12:13]
	v_mov_b32_e32 v17, v24
.LBB6_79:                               ;   in Loop: Header=BB6_69 Depth=3
	s_or_b64 exec, exec, s[46:47]
	s_cmp_eq_u32 s62, 0
	s_cbranch_scc1 .LBB6_68
; %bb.80:                               ;   in Loop: Header=BB6_69 Depth=3
	flat_store_dword v[61:62], v17
	s_branch .LBB6_68
.LBB6_81:                               ;   in Loop: Header=BB6_43 Depth=2
	s_andn2_b64 s[14:15], s[14:15], exec
	ds_write2_b32 v25, v57, v46 offset0:1 offset1:4
	s_or_b64 exec, exec, s[28:29]
	s_and_saveexec_b64 s[12:13], s[14:15]
	s_cbranch_execnz .LBB6_54
	s_branch .LBB6_55
.LBB6_82:                               ;   in Loop: Header=BB6_43 Depth=2
	s_or_b64 exec, exec, s[44:45]
.LBB6_83:                               ;   in Loop: Header=BB6_43 Depth=2
	s_or_b64 exec, exec, s[42:43]
	ds_read_b32 v51, v25 offset:8
.LBB6_84:                               ;   in Loop: Header=BB6_43 Depth=2
	s_or_b64 exec, exec, s[14:15]
	flat_load_dword v7, v[55:56]
                                        ; implicit-def: $vgpr46
                                        ; implicit-def: $vgpr34
	s_waitcnt vmcnt(0) lgkmcnt(0)
	v_sub_f32_e32 v7, v7, v51
	flat_store_dword v[55:56], v7
	flat_store_dword v[59:60], v17
                                        ; implicit-def: $vgpr59_vgpr60
                                        ; implicit-def: $vgpr55_vgpr56
.LBB6_85:                               ;   in Loop: Header=BB6_43 Depth=2
	s_andn2_saveexec_b64 s[40:41], s[40:41]
	s_cbranch_execz .LBB6_118
; %bb.86:                               ;   in Loop: Header=BB6_43 Depth=2
	v_add_co_u32_e32 v57, vcc, v5, v59
	v_addc_co_u32_e32 v58, vcc, v6, v60, vcc
	flat_load_dword v51, v[55:56] offset:4
	flat_load_dword v35, v[57:58]
                                        ; implicit-def: $vgpr33
	s_waitcnt vmcnt(0) lgkmcnt(0)
	v_sub_f32_e32 v32, v34, v51
	v_add_f32_e32 v24, v35, v35
	v_and_b32_e32 v18, 0x7fffffff, v24
	v_cmp_ngt_f32_e64 s[12:13], |v32|, |v24|
	s_and_saveexec_b64 s[14:15], s[12:13]
	s_xor_b64 s[14:15], exec, s[14:15]
	s_cbranch_execz .LBB6_92
; %bb.87:                               ;   in Loop: Header=BB6_43 Depth=2
	v_cmp_nlt_f32_e64 s[12:13], |v32|, |v24|
                                        ; implicit-def: $vgpr33
	s_and_saveexec_b64 s[42:43], s[12:13]
	s_xor_b64 s[12:13], exec, s[42:43]
	s_cbranch_execz .LBB6_89
; %bb.88:                               ;   in Loop: Header=BB6_43 Depth=2
	v_cvt_f64_f32_e32 v[17:18], v18
	v_mul_f64 v[17:18], v[17:18], s[20:21]
	v_cvt_f32_f64_e32 v33, v[17:18]
                                        ; implicit-def: $vgpr18
.LBB6_89:                               ;   in Loop: Header=BB6_43 Depth=2
	s_andn2_saveexec_b64 s[42:43], s[12:13]
	s_cbranch_execz .LBB6_91
; %bb.90:                               ;   in Loop: Header=BB6_43 Depth=2
	v_and_b32_e32 v7, 0x7fffffff, v32
	v_div_scale_f32 v8, s[12:13], v18, v18, v7
	v_div_scale_f32 v7, vcc, v7, v18, v7
	v_rcp_f32_e32 v12, v8
	v_fma_f32 v13, -v8, v12, 1.0
	v_fmac_f32_e32 v12, v13, v12
	v_mul_f32_e32 v13, v7, v12
	v_fma_f32 v16, -v8, v13, v7
	v_fmac_f32_e32 v13, v16, v12
	v_fma_f32 v7, -v8, v13, v7
	v_div_fmas_f32 v7, v7, v12, v13
	v_div_fixup_f32 v7, v7, |v24|, |v32|
	v_fma_f32 v7, v7, v7, 1.0
	v_cmp_gt_f32_e32 vcc, s60, v7
	v_mul_f32_e32 v8, 0x4f800000, v7
	v_cndmask_b32_e32 v7, v7, v8, vcc
	v_sqrt_f32_e32 v8, v7
	v_add_u32_e32 v12, -1, v8
	v_fma_f32 v13, -v12, v8, v7
	v_cmp_ge_f32_e64 s[12:13], 0, v13
	v_add_u32_e32 v13, 1, v8
	v_cndmask_b32_e64 v12, v8, v12, s[12:13]
	v_fma_f32 v8, -v13, v8, v7
	v_cmp_lt_f32_e64 s[12:13], 0, v8
	v_cndmask_b32_e64 v8, v12, v13, s[12:13]
	v_mul_f32_e32 v12, 0x37800000, v8
	v_cndmask_b32_e32 v8, v8, v12, vcc
	v_cmp_class_f32_e32 vcc, v7, v14
	v_cndmask_b32_e32 v7, v8, v7, vcc
	v_mul_f32_e64 v33, |v24|, v7
.LBB6_91:                               ;   in Loop: Header=BB6_43 Depth=2
	s_or_b64 exec, exec, s[42:43]
                                        ; implicit-def: $vgpr18
.LBB6_92:                               ;   in Loop: Header=BB6_43 Depth=2
	s_andn2_saveexec_b64 s[14:15], s[14:15]
	s_cbranch_execz .LBB6_94
; %bb.93:                               ;   in Loop: Header=BB6_43 Depth=2
	v_and_b32_e32 v7, 0x7fffffff, v32
	v_div_scale_f32 v8, s[12:13], v7, v7, v18
	v_div_scale_f32 v7, vcc, v18, v7, v18
	v_rcp_f32_e32 v12, v8
	v_fma_f32 v13, -v8, v12, 1.0
	v_fmac_f32_e32 v12, v13, v12
	v_mul_f32_e32 v13, v7, v12
	v_fma_f32 v16, -v8, v13, v7
	v_fmac_f32_e32 v13, v16, v12
	v_fma_f32 v7, -v8, v13, v7
	v_div_fmas_f32 v7, v7, v12, v13
	v_div_fixup_f32 v7, v7, |v32|, |v24|
	v_fma_f32 v7, v7, v7, 1.0
	v_cmp_gt_f32_e32 vcc, s60, v7
	v_mul_f32_e32 v8, 0x4f800000, v7
	v_cndmask_b32_e32 v7, v7, v8, vcc
	v_sqrt_f32_e32 v8, v7
	v_add_u32_e32 v12, -1, v8
	v_fma_f32 v13, -v12, v8, v7
	v_cmp_ge_f32_e64 s[12:13], 0, v13
	v_add_u32_e32 v13, 1, v8
	v_cndmask_b32_e64 v12, v8, v12, s[12:13]
	v_fma_f32 v8, -v13, v8, v7
	v_cmp_lt_f32_e64 s[12:13], 0, v8
	v_cndmask_b32_e64 v8, v12, v13, s[12:13]
	v_mul_f32_e32 v12, 0x37800000, v8
	v_cndmask_b32_e32 v8, v8, v12, vcc
	v_cmp_class_f32_e32 vcc, v7, v14
	v_cndmask_b32_e32 v7, v8, v7, vcc
	v_mul_f32_e64 v33, |v32|, v7
.LBB6_94:                               ;   in Loop: Header=BB6_43 Depth=2
	s_or_b64 exec, exec, s[14:15]
	v_add_f32_e32 v19, v34, v51
	v_cmp_gt_f32_e64 vcc, |v34|, |v51|
	v_cndmask_b32_e32 v18, v34, v51, vcc
	v_cndmask_b32_e32 v51, v51, v34, vcc
	v_cmp_ngt_f32_e32 vcc, 0, v19
                                        ; implicit-def: $vgpr62
	s_and_saveexec_b64 s[12:13], vcc
	s_xor_b64 s[12:13], exec, s[12:13]
	s_cbranch_execz .LBB6_100
; %bb.95:                               ;   in Loop: Header=BB6_43 Depth=2
	v_cmp_nlt_f32_e32 vcc, 0, v19
                                        ; implicit-def: $vgpr62
	s_and_saveexec_b64 s[14:15], vcc
	s_xor_b64 s[14:15], exec, s[14:15]
; %bb.96:                               ;   in Loop: Header=BB6_43 Depth=2
	v_mul_f32_e32 v61, 0.5, v33
	v_mul_f32_e32 v62, -0.5, v33
                                        ; implicit-def: $vgpr19
                                        ; implicit-def: $vgpr51
                                        ; implicit-def: $vgpr18
                                        ; implicit-def: $vgpr35
; %bb.97:                               ;   in Loop: Header=BB6_43 Depth=2
	s_andn2_saveexec_b64 s[14:15], s[14:15]
	s_cbranch_execz .LBB6_99
; %bb.98:                               ;   in Loop: Header=BB6_43 Depth=2
	v_add_f32_e32 v7, v19, v33
	v_mul_f32_e32 v61, 0.5, v7
	v_cvt_f64_f32_e32 v[7:8], v51
	v_cvt_f64_f32_e32 v[12:13], v61
	v_div_scale_f64 v[16:17], s[42:43], v[12:13], v[12:13], v[7:8]
	v_rcp_f64_e32 v[30:31], v[16:17]
	v_fma_f64 v[51:52], -v[16:17], v[30:31], 1.0
	v_fma_f64 v[30:31], v[30:31], v[51:52], v[30:31]
	v_fma_f64 v[51:52], -v[16:17], v[30:31], 1.0
	v_fma_f64 v[30:31], v[30:31], v[51:52], v[30:31]
	v_div_scale_f64 v[51:52], vcc, v[7:8], v[12:13], v[7:8]
	v_mul_f64 v[44:45], v[51:52], v[30:31]
	v_fma_f64 v[16:17], -v[16:17], v[44:45], v[51:52]
	s_nop 1
	v_div_fmas_f64 v[16:17], v[16:17], v[30:31], v[44:45]
	v_div_fixup_f64 v[7:8], v[16:17], v[12:13], v[7:8]
	v_cvt_f64_f32_e32 v[16:17], v18
	v_cvt_f64_f32_e32 v[18:19], v35
	v_div_scale_f64 v[30:31], s[42:43], v[12:13], v[12:13], v[18:19]
	v_rcp_f64_e32 v[34:35], v[30:31]
	v_fma_f64 v[51:52], -v[30:31], v[34:35], 1.0
	v_fma_f64 v[34:35], v[34:35], v[51:52], v[34:35]
	v_fma_f64 v[51:52], -v[30:31], v[34:35], 1.0
	v_fma_f64 v[34:35], v[34:35], v[51:52], v[34:35]
	v_div_scale_f64 v[51:52], vcc, v[18:19], v[12:13], v[18:19]
	v_mul_f64 v[44:45], v[51:52], v[34:35]
	v_fma_f64 v[30:31], -v[30:31], v[44:45], v[51:52]
	s_nop 1
	v_div_fmas_f64 v[30:31], v[30:31], v[34:35], v[44:45]
	v_div_fixup_f64 v[12:13], v[30:31], v[12:13], v[18:19]
	v_mul_f64 v[12:13], v[12:13], v[18:19]
	v_fma_f64 v[7:8], v[7:8], v[16:17], -v[12:13]
	v_cvt_f32_f64_e32 v62, v[7:8]
.LBB6_99:                               ;   in Loop: Header=BB6_43 Depth=2
	s_or_b64 exec, exec, s[14:15]
                                        ; implicit-def: $vgpr19
                                        ; implicit-def: $vgpr51
                                        ; implicit-def: $vgpr18
                                        ; implicit-def: $vgpr35
.LBB6_100:                              ;   in Loop: Header=BB6_43 Depth=2
	s_or_saveexec_b64 s[12:13], s[12:13]
	v_mov_b32_e32 v34, 1
	s_xor_b64 exec, exec, s[12:13]
	s_cbranch_execz .LBB6_102
; %bb.101:                              ;   in Loop: Header=BB6_43 Depth=2
	v_sub_f32_e32 v7, v19, v33
	v_mul_f32_e32 v61, 0.5, v7
	v_cvt_f64_f32_e32 v[51:52], v51
	v_cvt_f64_f32_e32 v[7:8], v61
	v_div_scale_f64 v[12:13], s[14:15], v[7:8], v[7:8], v[51:52]
	v_rcp_f64_e32 v[44:45], v[12:13]
	v_fma_f64 v[30:31], -v[12:13], v[44:45], 1.0
	v_fma_f64 v[30:31], v[44:45], v[30:31], v[44:45]
	v_fma_f64 v[44:45], -v[12:13], v[30:31], 1.0
	v_fma_f64 v[30:31], v[30:31], v[44:45], v[30:31]
	v_div_scale_f64 v[44:45], vcc, v[51:52], v[7:8], v[51:52]
	v_mul_f64 v[16:17], v[44:45], v[30:31]
	v_fma_f64 v[12:13], -v[12:13], v[16:17], v[44:45]
	s_nop 1
	v_div_fmas_f64 v[12:13], v[12:13], v[30:31], v[16:17]
	v_cvt_f64_f32_e32 v[16:17], v18
	v_cvt_f64_f32_e32 v[18:19], v35
	v_div_scale_f64 v[30:31], s[14:15], v[7:8], v[7:8], v[18:19]
	v_div_fixup_f64 v[12:13], v[12:13], v[7:8], v[51:52]
	v_rcp_f64_e32 v[34:35], v[30:31]
	v_fma_f64 v[51:52], -v[30:31], v[34:35], 1.0
	v_fma_f64 v[34:35], v[34:35], v[51:52], v[34:35]
	v_fma_f64 v[51:52], -v[30:31], v[34:35], 1.0
	v_fma_f64 v[34:35], v[34:35], v[51:52], v[34:35]
	v_div_scale_f64 v[51:52], vcc, v[18:19], v[7:8], v[18:19]
	v_mul_f64 v[44:45], v[51:52], v[34:35]
	v_fma_f64 v[30:31], -v[30:31], v[44:45], v[51:52]
	s_nop 1
	v_div_fmas_f64 v[30:31], v[30:31], v[34:35], v[44:45]
	v_mov_b32_e32 v34, -1
	v_div_fixup_f64 v[7:8], v[30:31], v[7:8], v[18:19]
	v_mul_f64 v[7:8], v[7:8], v[18:19]
	v_fma_f64 v[7:8], v[12:13], v[16:17], -v[7:8]
	v_cvt_f32_f64_e32 v62, v[7:8]
.LBB6_102:                              ;   in Loop: Header=BB6_43 Depth=2
	s_or_b64 exec, exec, s[12:13]
	v_cmp_nle_f32_e64 s[12:13], 0, v32
	v_cndmask_b32_e64 v7, v33, -v33, s[12:13]
	v_add_f32_e32 v18, v32, v7
	v_cmp_ngt_f32_e64 s[14:15], |v18|, |v24|
                                        ; implicit-def: $vgpr32
                                        ; implicit-def: $vgpr19
	s_and_saveexec_b64 s[42:43], s[14:15]
	s_xor_b64 s[42:43], exec, s[42:43]
	s_cbranch_execz .LBB6_106
; %bb.103:                              ;   in Loop: Header=BB6_43 Depth=2
	v_mov_b32_e32 v19, 0
	v_cmp_neq_f32_e32 vcc, 0, v24
	v_mov_b32_e32 v32, 1.0
	s_and_saveexec_b64 s[44:45], vcc
	s_cbranch_execz .LBB6_105
; %bb.104:                              ;   in Loop: Header=BB6_43 Depth=2
	v_div_scale_f32 v7, s[14:15], v24, v24, -v18
	v_div_scale_f32 v8, vcc, -v18, v24, -v18
	v_rcp_f32_e32 v12, v7
	v_fma_f32 v13, -v7, v12, 1.0
	v_fmac_f32_e32 v12, v13, v12
	v_mul_f32_e32 v13, v8, v12
	v_fma_f32 v16, -v7, v13, v8
	v_fmac_f32_e32 v13, v16, v12
	v_fma_f32 v7, -v7, v13, v8
	v_div_fmas_f32 v7, v7, v12, v13
	v_div_fixup_f32 v7, v7, v24, -v18
	v_fma_f32 v8, v7, v7, 1.0
	v_mul_f32_e32 v12, 0x4f800000, v8
	v_cmp_gt_f32_e32 vcc, s60, v8
	v_cndmask_b32_e32 v8, v8, v12, vcc
	v_sqrt_f32_e32 v12, v8
	v_add_u32_e32 v13, -1, v12
	v_add_u32_e32 v16, 1, v12
	v_fma_f32 v17, -v13, v12, v8
	v_fma_f32 v18, -v16, v12, v8
	v_cmp_ge_f32_e64 s[14:15], 0, v17
	v_cndmask_b32_e64 v12, v12, v13, s[14:15]
	v_cmp_lt_f32_e64 s[14:15], 0, v18
	v_cndmask_b32_e64 v12, v12, v16, s[14:15]
	v_mul_f32_e32 v13, 0x37800000, v12
	v_cndmask_b32_e32 v12, v12, v13, vcc
	v_cmp_class_f32_e32 vcc, v8, v14
	v_cndmask_b32_e32 v8, v12, v8, vcc
	v_div_scale_f32 v12, s[14:15], v8, v8, 1.0
	v_div_scale_f32 v13, vcc, 1.0, v8, 1.0
	v_rcp_f32_e32 v16, v12
	v_fma_f32 v17, -v12, v16, 1.0
	v_fmac_f32_e32 v16, v17, v16
	v_mul_f32_e32 v17, v13, v16
	v_fma_f32 v18, -v12, v17, v13
	v_fmac_f32_e32 v17, v18, v16
	v_fma_f32 v12, -v12, v17, v13
	v_div_fmas_f32 v12, v12, v16, v17
	v_div_fixup_f32 v32, v12, v8, 1.0
	v_mul_f32_e32 v19, v7, v32
.LBB6_105:                              ;   in Loop: Header=BB6_43 Depth=2
	s_or_b64 exec, exec, s[44:45]
                                        ; implicit-def: $vgpr18
                                        ; implicit-def: $vgpr24
.LBB6_106:                              ;   in Loop: Header=BB6_43 Depth=2
	s_andn2_saveexec_b64 s[42:43], s[42:43]
	s_cbranch_execz .LBB6_108
; %bb.107:                              ;   in Loop: Header=BB6_43 Depth=2
	v_div_scale_f32 v7, s[14:15], v18, v18, -v24
	v_div_scale_f32 v8, vcc, -v24, v18, -v24
	v_rcp_f32_e32 v12, v7
	v_fma_f32 v13, -v7, v12, 1.0
	v_fmac_f32_e32 v12, v13, v12
	v_mul_f32_e32 v13, v8, v12
	v_fma_f32 v16, -v7, v13, v8
	v_fmac_f32_e32 v13, v16, v12
	v_fma_f32 v7, -v7, v13, v8
	v_div_fmas_f32 v7, v7, v12, v13
	v_div_fixup_f32 v7, v7, v18, -v24
	v_fma_f32 v8, v7, v7, 1.0
	v_mul_f32_e32 v12, 0x4f800000, v8
	v_cmp_gt_f32_e32 vcc, s60, v8
	v_cndmask_b32_e32 v8, v8, v12, vcc
	v_sqrt_f32_e32 v12, v8
	v_add_u32_e32 v13, -1, v12
	v_add_u32_e32 v16, 1, v12
	v_fma_f32 v17, -v13, v12, v8
	v_fma_f32 v18, -v16, v12, v8
	v_cmp_ge_f32_e64 s[14:15], 0, v17
	v_cndmask_b32_e64 v12, v12, v13, s[14:15]
	v_cmp_lt_f32_e64 s[14:15], 0, v18
	v_cndmask_b32_e64 v12, v12, v16, s[14:15]
	v_mul_f32_e32 v13, 0x37800000, v12
	v_cndmask_b32_e32 v12, v12, v13, vcc
	v_cmp_class_f32_e32 vcc, v8, v14
	v_cndmask_b32_e32 v8, v12, v8, vcc
	v_div_scale_f32 v12, s[14:15], v8, v8, 1.0
	v_div_scale_f32 v13, vcc, 1.0, v8, 1.0
	v_rcp_f32_e32 v16, v12
	v_fma_f32 v17, -v12, v16, 1.0
	v_fmac_f32_e32 v16, v17, v16
	v_mul_f32_e32 v17, v13, v16
	v_fma_f32 v18, -v12, v17, v13
	v_fmac_f32_e32 v17, v18, v16
	v_fma_f32 v12, -v12, v17, v13
	v_div_fmas_f32 v12, v12, v16, v17
	v_div_fixup_f32 v19, v12, v8, 1.0
	v_mul_f32_e32 v32, v7, v19
.LBB6_108:                              ;   in Loop: Header=BB6_43 Depth=2
	s_or_b64 exec, exec, s[42:43]
	v_cndmask_b32_e64 v7, 1, -1, s[12:13]
	v_cmp_eq_u32_e32 vcc, v34, v7
	buffer_load_dword v7, off, s[0:3], s32 offset:80 ; 4-byte Folded Reload
	buffer_load_dword v8, off, s[0:3], s32 offset:76 ; 4-byte Folded Reload
	v_cndmask_b32_e32 v12, v19, v32, vcc
	v_cndmask_b32_e64 v13, v32, -v19, vcc
	s_waitcnt vmcnt(1)
	v_add_co_u32_e32 v7, vcc, v7, v59
	s_waitcnt vmcnt(0)
	v_addc_co_u32_e32 v8, vcc, v8, v60, vcc
	flat_store_dword v[7:8], v13
	buffer_load_dword v16, off, s[0:3], s32 offset:68 ; 4-byte Folded Reload
	buffer_load_dword v17, off, s[0:3], s32 offset:72 ; 4-byte Folded Reload
	s_waitcnt vmcnt(0)
	v_add_co_u32_e32 v7, vcc, v7, v16
	v_addc_co_u32_e32 v8, vcc, v8, v17, vcc
	flat_store_dword v[7:8], v12
	flat_store_dwordx2 v[55:56], v[61:62]
	flat_store_dword v[57:58], v25
	v_add_u32_e32 v7, 2, v46
	ds_write_b32 v25, v7
	s_or_b64 exec, exec, s[40:41]
                                        ; implicit-def: $vgpr55_vgpr56
                                        ; implicit-def: $vgpr34
                                        ; implicit-def: $vgpr46
.LBB6_109:                              ;   in Loop: Header=BB6_43 Depth=2
	s_andn2_saveexec_b64 s[12:13], s[28:29]
	s_cbranch_execz .LBB6_111
.LBB6_110:                              ;   in Loop: Header=BB6_43 Depth=2
	v_add_u32_e32 v7, 1, v46
	flat_store_dword v[55:56], v34
	ds_write_b32 v25, v7
.LBB6_111:                              ;   in Loop: Header=BB6_43 Depth=2
	s_or_b64 exec, exec, s[12:13]
.LBB6_112:                              ;   in Loop: Header=BB6_43 Depth=2
	s_or_b64 exec, exec, s[26:27]
	s_waitcnt vmcnt(0) lgkmcnt(0)
	s_barrier
	ds_read_b64 v[33:34], v25
	s_waitcnt lgkmcnt(0)
	v_cmp_eq_u32_e32 vcc, v34, v33
	s_cbranch_vccnz .LBB6_42
; %bb.113:                              ;   in Loop: Header=BB6_43 Depth=2
	s_and_saveexec_b64 s[26:27], s[8:9]
	s_cbranch_execz .LBB6_41
; %bb.114:                              ;   in Loop: Header=BB6_43 Depth=2
	buffer_load_dword v19, off, s[0:3], s32 offset:96 ; 4-byte Folded Reload
	ds_read_b32 v7, v25 offset:16
	s_mov_b64 s[28:29], 0
	v_mov_b32_e32 v52, v0
	s_waitcnt lgkmcnt(0)
	v_mul_lo_u32 v12, v7, v9
	v_readfirstlane_b32 s12, v7
	v_subrev_u32_e32 v18, s12, v34
	v_mad_i64_i32 v[16:17], s[12:13], v18, v9, 0
	v_ashrrev_i32_e32 v13, 31, v12
	v_lshlrev_b64 v[12:13], 2, v[12:13]
	v_add_u32_e32 v24, -1, v18
	v_lshlrev_b64 v[16:17], 2, v[16:17]
	v_ashrrev_i32_e32 v8, 31, v7
	v_lshlrev_b64 v[7:8], 2, v[7:8]
	s_waitcnt vmcnt(0)
	v_add_co_u32_e32 v51, vcc, v19, v12
	buffer_load_dword v19, off, s[0:3], s32 offset:92 ; 4-byte Folded Reload
	s_waitcnt vmcnt(0)
	v_addc_co_u32_e32 v59, vcc, v19, v13, vcc
	v_mad_u64_u32 v[12:13], s[12:13], v26, v24, v[12:13]
	v_add_co_u32_e32 v19, vcc, v51, v16
	v_addc_co_u32_e32 v60, vcc, v59, v17, vcc
	v_mad_u64_u32 v[16:17], s[14:15], v27, v24, v[13:14]
	buffer_load_dword v13, off, s[0:3], s32 offset:100 ; 4-byte Folded Reload
	v_cmp_lt_i32_e64 s[12:13], 0, v18
	s_waitcnt vmcnt(0)
	v_add_co_u32_e32 v32, vcc, v13, v12
	buffer_load_dword v12, off, s[0:3], s32 offset:104 ; 4-byte Folded Reload
	s_waitcnt vmcnt(0)
	v_addc_co_u32_e32 v33, vcc, v12, v16, vcc
	v_lshlrev_b64 v[12:13], 2, v[24:25]
	v_add_co_u32_e32 v7, vcc, v7, v12
	buffer_load_dword v12, off, s[0:3], s32 offset:80 ; 4-byte Folded Reload
	v_addc_co_u32_e32 v8, vcc, v8, v13, vcc
	s_waitcnt vmcnt(0)
	v_add_co_u32_e32 v34, vcc, v12, v7
	buffer_load_dword v7, off, s[0:3], s32 offset:76 ; 4-byte Folded Reload
	s_waitcnt vmcnt(0)
	v_addc_co_u32_e32 v35, vcc, v7, v8, vcc
	s_branch .LBB6_116
.LBB6_115:                              ;   in Loop: Header=BB6_116 Depth=3
	v_add_u32_e32 v52, v52, v23
	v_cmp_ge_i32_e32 vcc, v52, v2
	s_or_b64 s[28:29], vcc, s[28:29]
	v_add_co_u32_e32 v32, vcc, v32, v28
	v_addc_co_u32_e32 v33, vcc, v33, v29, vcc
	s_waitcnt vmcnt(0) lgkmcnt(0)
	flat_store_dword v[46:47], v53
	s_andn2_b64 exec, exec, s[28:29]
	s_cbranch_execz .LBB6_41
.LBB6_116:                              ;   Parent Loop BB6_6 Depth=1
                                        ;     Parent Loop BB6_43 Depth=2
                                        ; =>    This Loop Header: Depth=3
                                        ;         Child Loop BB6_117 Depth 4
	v_ashrrev_i32_e32 v53, 31, v52
	v_lshlrev_b64 v[7:8], 2, v[52:53]
	v_mov_b32_e32 v56, v35
	v_add_co_u32_e32 v12, vcc, v19, v7
	v_addc_co_u32_e32 v13, vcc, v60, v8, vcc
	flat_load_dword v53, v[12:13]
	v_add_co_u32_e32 v46, vcc, v51, v7
	v_addc_co_u32_e32 v47, vcc, v59, v8, vcc
	v_mov_b32_e32 v58, v33
	s_andn2_b64 vcc, exec, s[12:13]
	v_mov_b32_e32 v55, v34
	v_mov_b32_e32 v57, v32
	;; [unrolled: 1-line block ×3, first 2 shown]
	s_cbranch_vccnz .LBB6_115
.LBB6_117:                              ;   Parent Loop BB6_6 Depth=1
                                        ;     Parent Loop BB6_43 Depth=2
                                        ;       Parent Loop BB6_116 Depth=3
                                        ; =>      This Inner Loop Header: Depth=4
	v_add_co_u32_e32 v7, vcc, v55, v3
	v_addc_co_u32_e32 v8, vcc, v56, v63, vcc
	flat_load_dword v16, v[57:58]
	flat_load_dword v17, v[55:56]
	;; [unrolled: 1-line block ×3, first 2 shown]
	v_mad_u64_u32 v[7:8], s[14:15], v24, v9, 0
	v_add_co_u32_e32 v57, vcc, v57, v22
	v_mad_u64_u32 v[12:13], s[14:15], v24, v10, v[8:9]
	v_addc_co_u32_e32 v58, vcc, v58, v1, vcc
	v_mov_b32_e32 v8, v12
	v_add_co_u32_e32 v55, vcc, -4, v55
	v_lshlrev_b64 v[7:8], 2, v[7:8]
	v_add_u32_e32 v31, -1, v24
	v_addc_co_u32_e32 v56, vcc, -1, v56, vcc
	s_waitcnt vmcnt(0) lgkmcnt(0)
	v_mov_b32_e32 v44, v53
	v_cmp_eq_u32_e32 vcc, 0, v31
	v_add_co_u32_e64 v7, s[14:15], v46, v7
	s_and_b64 vcc, exec, vcc
	v_mov_b32_e32 v24, v31
	v_addc_co_u32_e64 v8, s[14:15], v47, v8, s[14:15]
	v_mul_f32_e32 v53, v17, v16
	v_mul_f32_e32 v12, v30, v16
	v_fmac_f32_e32 v53, v44, v30
	v_fma_f32 v12, v44, v17, -v12
	flat_store_dword v[7:8], v12
	s_cbranch_vccz .LBB6_117
	s_branch .LBB6_115
.LBB6_118:                              ;   in Loop: Header=BB6_43 Depth=2
	s_or_b64 exec, exec, s[40:41]
                                        ; implicit-def: $vgpr55_vgpr56
                                        ; implicit-def: $vgpr34
                                        ; implicit-def: $vgpr46
	s_andn2_saveexec_b64 s[12:13], s[28:29]
	s_cbranch_execnz .LBB6_110
	s_branch .LBB6_111
.LBB6_119:                              ;   in Loop: Header=BB6_6 Depth=1
	v_lshlrev_b64 v[7:8], 2, v[54:55]
	v_mov_b32_e32 v52, v54
	v_add_co_u32_e32 v32, vcc, v20, v7
	v_addc_co_u32_e32 v33, vcc, v4, v8, vcc
	flat_load_dword v24, v[32:33]
	v_add_co_u32_e32 v34, vcc, v5, v7
	v_addc_co_u32_e32 v35, vcc, v6, v8, vcc
	s_mov_b64 s[26:27], 0
	v_mov_b32_e32 v53, v55
                                        ; implicit-def: $sgpr24_sgpr25
                                        ; implicit-def: $sgpr40_sgpr41
                                        ; implicit-def: $sgpr28_sgpr29
	s_branch .LBB6_121
.LBB6_120:                              ;   in Loop: Header=BB6_121 Depth=2
	s_or_b64 exec, exec, s[42:43]
	s_xor_b64 s[10:11], s[28:29], -1
	s_and_b64 s[42:43], exec, s[40:41]
	s_or_b64 s[26:27], s[42:43], s[26:27]
	v_add_co_u32_e32 v32, vcc, 4, v32
	s_andn2_b64 s[24:25], s[24:25], exec
	s_and_b64 s[10:11], s[10:11], exec
	v_addc_co_u32_e32 v33, vcc, 0, v33, vcc
	s_or_b64 s[24:25], s[24:25], s[10:11]
	s_andn2_b64 exec, exec, s[26:27]
	s_cbranch_execz .LBB6_123
.LBB6_121:                              ;   Parent Loop BB6_6 Depth=1
                                        ; =>  This Inner Loop Header: Depth=2
	s_waitcnt vmcnt(0) lgkmcnt(0)
	v_cmp_lt_f32_e64 vcc, |v24|, s60
	v_mul_f32_e64 v8, |v24|, s61
	v_cndmask_b32_e64 v8, |v24|, v8, vcc
	flat_load_dword v24, v[32:33] offset:4
	flat_load_dword v7, v[34:35]
	v_sqrt_f32_e32 v12, v8
	v_mov_b32_e32 v36, v52
	v_mov_b32_e32 v49, v35
	;; [unrolled: 1-line block ×3, first 2 shown]
	v_add_u32_e32 v13, -1, v12
	v_fma_f32 v18, -v13, v12, v8
	v_cmp_ge_f32_e64 s[10:11], 0, v18
	v_add_u32_e32 v18, 1, v12
	v_cndmask_b32_e64 v13, v12, v13, s[10:11]
	v_fma_f32 v12, -v18, v12, v8
	v_cmp_lt_f32_e64 s[10:11], 0, v12
	v_cndmask_b32_e64 v12, v13, v18, s[10:11]
	v_mul_f32_e32 v13, 0x37800000, v12
	v_cndmask_b32_e32 v12, v12, v13, vcc
	v_cmp_class_f32_e32 vcc, v8, v14
	v_cndmask_b32_e32 v8, v12, v8, vcc
	v_mov_b32_e32 v48, v34
	s_or_b64 s[28:29], s[28:29], exec
	s_or_b64 s[40:41], s[40:41], exec
                                        ; implicit-def: $vgpr52_vgpr53
                                        ; implicit-def: $vgpr34_vgpr35
	s_waitcnt vmcnt(0) lgkmcnt(0)
	v_cmp_lt_f32_e64 vcc, |v24|, s60
	v_mul_f32_e64 v12, |v24|, s61
	v_cndmask_b32_e64 v12, |v24|, v12, vcc
	v_sqrt_f32_e32 v13, v12
	v_add_u32_e32 v19, -1, v13
	v_fma_f32 v18, -v19, v13, v12
	v_cmp_ge_f32_e64 s[10:11], 0, v18
	v_add_u32_e32 v18, 1, v13
	v_cndmask_b32_e64 v19, v13, v19, s[10:11]
	v_fma_f32 v13, -v18, v13, v12
	v_cmp_lt_f32_e64 s[10:11], 0, v13
	v_cndmask_b32_e64 v13, v19, v18, s[10:11]
	v_mul_f32_e32 v18, 0x37800000, v13
	v_cndmask_b32_e32 v13, v13, v18, vcc
	v_cmp_class_f32_e32 vcc, v12, v14
	v_cndmask_b32_e32 v12, v13, v12, vcc
	v_mul_f32_e32 v8, v8, v12
	v_mul_f32_e32 v8, v15, v8
	v_cmp_nle_f32_e64 s[10:11], |v7|, v8
	s_and_saveexec_b64 s[42:43], s[10:11]
	s_cbranch_execz .LBB6_120
; %bb.122:                              ;   in Loop: Header=BB6_121 Depth=2
	v_add_co_u32_e32 v52, vcc, 1, v36
	v_addc_co_u32_e32 v53, vcc, 0, v37, vcc
	v_add_co_u32_e32 v34, vcc, 4, v48
	v_addc_co_u32_e32 v35, vcc, 0, v49, vcc
	v_cmp_ge_i32_e32 vcc, v52, v30
	s_andn2_b64 s[10:11], s[40:41], exec
	s_and_b64 s[40:41], vcc, exec
	s_andn2_b64 s[28:29], s[28:29], exec
	s_or_b64 s[40:41], s[10:11], s[40:41]
	s_branch .LBB6_120
.LBB6_123:                              ;   in Loop: Header=BB6_6 Depth=1
	s_or_b64 exec, exec, s[26:27]
	buffer_store_dword v54, off, s[0:3], s32 offset:168 ; 4-byte Folded Spill
	s_nop 0
	buffer_store_dword v55, off, s[0:3], s32 offset:172 ; 4-byte Folded Spill
	s_andn2_b64 s[14:15], s[14:15], exec
	s_and_b64 s[24:25], s[24:25], exec
	v_mov_b32_e32 v33, v31
	s_mov_b64 s[10:11], exec
	s_or_b64 s[14:15], s[14:15], s[24:25]
	v_mov_b32_e32 v18, v30
	v_mov_b32_e32 v32, v30
	;; [unrolled: 1-line block ×4, first 2 shown]
	s_or_b64 exec, exec, s[22:23]
	s_and_saveexec_b64 s[22:23], s[14:15]
	s_cbranch_execz .LBB6_13
.LBB6_124:                              ;   in Loop: Header=BB6_6 Depth=1
	ds_write_b32 v25, v18 offset:4
	s_andn2_b64 s[10:11], s[10:11], exec
	s_or_b64 exec, exec, s[22:23]
	s_and_saveexec_b64 s[14:15], s[10:11]
	s_cbranch_execnz .LBB6_14
	s_branch .LBB6_15
.LBB6_125:                              ;   in Loop: Header=BB6_6 Depth=1
	s_or_b64 exec, exec, s[24:25]
.LBB6_126:                              ;   in Loop: Header=BB6_6 Depth=1
	s_or_b64 exec, exec, s[22:23]
	s_mov_b64 s[12:13], 0
.LBB6_127:                              ;   in Loop: Header=BB6_6 Depth=1
	s_andn2_b64 vcc, exec, s[12:13]
	s_cbranch_vccnz .LBB6_208
; %bb.128:                              ;   in Loop: Header=BB6_6 Depth=1
	s_and_saveexec_b64 s[14:15], s[10:11]
	s_cbranch_execz .LBB6_210
; %bb.129:                              ;   in Loop: Header=BB6_6 Depth=1
	s_mov_b64 s[22:23], 0
	s_branch .LBB6_132
.LBB6_130:                              ;   in Loop: Header=BB6_132 Depth=2
	s_or_b64 exec, exec, s[12:13]
	s_waitcnt vmcnt(0) lgkmcnt(0)
	s_barrier
	ds_read_b32 v54, v25
.LBB6_131:                              ;   in Loop: Header=BB6_132 Depth=2
	buffer_load_dword v7, off, s[0:3], s32 offset:64 ; 4-byte Folded Reload
	ds_read2_b32 v[40:41], v25 offset0:5 offset1:7
	s_waitcnt lgkmcnt(0)
	v_cmp_lt_i32_e32 vcc, v54, v40
	s_waitcnt vmcnt(0)
	v_cmp_ge_i32_e64 s[10:11], v41, v7
	s_or_b64 s[10:11], vcc, s[10:11]
	s_and_b64 s[10:11], exec, s[10:11]
	s_or_b64 s[22:23], s[10:11], s[22:23]
	s_andn2_b64 exec, exec, s[22:23]
	s_cbranch_execz .LBB6_209
.LBB6_132:                              ;   Parent Loop BB6_6 Depth=1
                                        ; =>  This Loop Header: Depth=2
                                        ;       Child Loop BB6_138 Depth 3
                                        ;       Child Loop BB6_158 Depth 3
	;; [unrolled: 1-line block ×3, first 2 shown]
                                        ;         Child Loop BB6_206 Depth 4
	s_and_saveexec_b64 s[24:25], s[4:5]
	s_cbranch_execz .LBB6_201
; %bb.133:                              ;   in Loop: Header=BB6_132 Depth=2
	v_cmp_gt_i32_e32 vcc, v54, v40
	s_mov_b64 s[12:13], 0
	s_cbranch_vccnz .LBB6_135
; %bb.134:                              ;   in Loop: Header=BB6_132 Depth=2
	v_ashrrev_i32_e32 v55, 31, v54
	v_mov_b32_e32 v32, v54
	s_mov_b64 s[10:11], -1
	v_mov_b32_e32 v33, v55
	v_mov_b32_e32 v46, v54
	s_cbranch_execz .LBB6_136
	s_branch .LBB6_141
.LBB6_135:                              ;   in Loop: Header=BB6_132 Depth=2
                                        ; implicit-def: $vgpr32_vgpr33
	s_mov_b64 s[10:11], 0
	v_mov_b32_e32 v46, v54
.LBB6_136:                              ;   in Loop: Header=BB6_132 Depth=2
	buffer_load_dword v11, off, s[0:3], s32 offset:116 ; 4-byte Folded Reload
	v_ashrrev_i32_e32 v55, 31, v54
	v_lshlrev_b64 v[7:8], 2, v[54:55]
	v_mov_b32_e32 v18, v54
                                        ; implicit-def: $sgpr10_sgpr11
                                        ; implicit-def: $sgpr28_sgpr29
                                        ; implicit-def: $sgpr26_sgpr27
	s_waitcnt vmcnt(0)
	v_add_co_u32_e32 v32, vcc, v11, v7
	buffer_load_dword v11, off, s[0:3], s32 offset:120 ; 4-byte Folded Reload
	s_waitcnt vmcnt(0)
	v_addc_co_u32_e32 v33, vcc, v11, v8, vcc
	buffer_load_dword v11, off, s[0:3], s32 offset:124 ; 4-byte Folded Reload
	s_waitcnt vmcnt(0)
	v_add_co_u32_e32 v34, vcc, v11, v7
	buffer_load_dword v7, off, s[0:3], s32 offset:128 ; 4-byte Folded Reload
	s_waitcnt vmcnt(0)
	v_addc_co_u32_e32 v35, vcc, v7, v8, vcc
	s_branch .LBB6_138
.LBB6_137:                              ;   in Loop: Header=BB6_138 Depth=3
	s_or_b64 exec, exec, s[40:41]
	s_xor_b64 s[40:41], s[26:27], -1
	s_and_b64 s[42:43], exec, s[28:29]
	s_or_b64 s[12:13], s[42:43], s[12:13]
	s_andn2_b64 s[10:11], s[10:11], exec
	s_and_b64 s[40:41], s[40:41], exec
	s_or_b64 s[10:11], s[10:11], s[40:41]
	s_andn2_b64 exec, exec, s[12:13]
	s_cbranch_execz .LBB6_140
.LBB6_138:                              ;   Parent Loop BB6_6 Depth=1
                                        ;     Parent Loop BB6_132 Depth=2
                                        ; =>    This Inner Loop Header: Depth=3
	flat_load_dwordx2 v[7:8], v[32:33]
	flat_load_dword v12, v[34:35]
	v_mov_b32_e32 v39, v35
	v_mov_b32_e32 v38, v34
	;; [unrolled: 1-line block ×3, first 2 shown]
	s_or_b64 s[26:27], s[26:27], exec
	s_or_b64 s[28:29], s[28:29], exec
                                        ; implicit-def: $vgpr18
                                        ; implicit-def: $vgpr34_vgpr35
	s_waitcnt vmcnt(0) lgkmcnt(0)
	v_mul_f32_e32 v7, v8, v7
	v_mul_f32_e32 v8, v12, v12
	v_mul_f32_e64 v7, v21, |v7|
	v_cmp_nle_f32_e64 s[42:43], |v8|, v7
	s_and_saveexec_b64 s[40:41], s[42:43]
	s_cbranch_execz .LBB6_137
; %bb.139:                              ;   in Loop: Header=BB6_138 Depth=3
	v_add_co_u32_e32 v32, vcc, -4, v32
	v_addc_co_u32_e32 v33, vcc, -1, v33, vcc
	v_add_co_u32_e32 v34, vcc, -4, v38
	v_add_u32_e32 v18, -1, v11
	v_addc_co_u32_e32 v35, vcc, -1, v39, vcc
	v_cmp_le_i32_e32 vcc, v18, v40
	s_andn2_b64 s[28:29], s[28:29], exec
	s_and_b64 s[42:43], vcc, exec
	s_andn2_b64 s[26:27], s[26:27], exec
	s_or_b64 s[28:29], s[28:29], s[42:43]
	s_branch .LBB6_137
.LBB6_140:                              ;   in Loop: Header=BB6_132 Depth=2
	s_or_b64 exec, exec, s[12:13]
	buffer_store_dword v54, off, s[0:3], s32 offset:108 ; 4-byte Folded Spill
	s_nop 0
	buffer_store_dword v55, off, s[0:3], s32 offset:112 ; 4-byte Folded Spill
	s_mov_b64 s[12:13], -1
	v_mov_b32_e32 v46, v40
	v_mov_b32_e32 v32, v54
	;; [unrolled: 1-line block ×3, first 2 shown]
.LBB6_141:                              ;   in Loop: Header=BB6_132 Depth=2
	s_and_saveexec_b64 s[26:27], s[10:11]
	s_cbranch_execnz .LBB6_170
; %bb.142:                              ;   in Loop: Header=BB6_132 Depth=2
	s_or_b64 exec, exec, s[26:27]
	s_and_saveexec_b64 s[10:11], s[12:13]
	s_cbranch_execz .LBB6_144
.LBB6_143:                              ;   in Loop: Header=BB6_132 Depth=2
	ds_write2_b32 v25, v11, v54 offset0:1 offset1:4
	flat_store_dword v[38:39], v25
	buffer_load_dword v32, off, s[0:3], s32 offset:108 ; 4-byte Folded Reload
	buffer_load_dword v33, off, s[0:3], s32 offset:112 ; 4-byte Folded Reload
	v_mov_b32_e32 v46, v11
.LBB6_144:                              ;   in Loop: Header=BB6_132 Depth=2
	s_or_b64 exec, exec, s[10:11]
	s_waitcnt vmcnt(0)
	v_lshlrev_b64 v[44:45], 2, v[32:33]
	v_add_co_u32_e32 v42, vcc, v20, v44
	v_addc_co_u32_e32 v43, vcc, v4, v45, vcc
	flat_load_dword v50, v[42:43]
	v_cmp_ne_u32_e32 vcc, v46, v54
	s_waitcnt vmcnt(0) lgkmcnt(0)
	ds_write_b32 v25, v50 offset:8
	s_and_saveexec_b64 s[10:11], vcc
	s_xor_b64 s[26:27], exec, s[10:11]
	s_cbranch_execz .LBB6_198
; %bb.145:                              ;   in Loop: Header=BB6_132 Depth=2
	v_add_u32_e32 v32, -1, v54
	v_cmp_ne_u32_e32 vcc, v46, v32
	s_and_saveexec_b64 s[10:11], vcc
	s_xor_b64 s[28:29], exec, s[10:11]
	s_cbranch_execz .LBB6_174
; %bb.146:                              ;   in Loop: Header=BB6_132 Depth=2
	v_add_co_u32_e32 v7, vcc, -4, v42
	v_addc_co_u32_e32 v8, vcc, -1, v43, vcc
	flat_load_dword v7, v[7:8]
	v_ashrrev_i32_e32 v33, 31, v32
	v_ashrrev_i32_e32 v47, 31, v46
	v_add_u32_e32 v52, 1, v41
	v_mov_b32_e32 v51, 0
	s_waitcnt vmcnt(0) lgkmcnt(0)
	v_sub_f32_e32 v12, v7, v50
	v_lshlrev_b64 v[7:8], 2, v[32:33]
	v_lshlrev_b64 v[32:33], 2, v[46:47]
	v_add_co_u32_e32 v7, vcc, v5, v7
	v_addc_co_u32_e32 v8, vcc, v6, v8, vcc
	flat_load_dword v24, v[7:8]
	s_waitcnt vmcnt(0) lgkmcnt(0)
	v_add_f32_e32 v7, v24, v24
	v_div_scale_f32 v8, s[10:11], v7, v7, v12
	v_rcp_f32_e32 v13, v8
	v_fma_f32 v16, -v8, v13, 1.0
	v_fmac_f32_e32 v13, v16, v13
	v_div_scale_f32 v16, vcc, v12, v7, v12
	v_mul_f32_e32 v17, v16, v13
	v_fma_f32 v18, -v8, v17, v16
	v_fmac_f32_e32 v17, v18, v13
	v_fma_f32 v8, -v8, v17, v16
	v_div_fmas_f32 v8, v8, v13, v17
	v_div_fixup_f32 v53, v8, v7, v12
	v_fma_f32 v7, v53, v53, 1.0
	v_cmp_gt_f32_e64 s[10:11], s60, v7
	v_mul_f32_e32 v8, 0x4f800000, v7
	v_cndmask_b32_e64 v7, v7, v8, s[10:11]
	v_sqrt_f32_e32 v8, v7
	v_cmp_nle_f32_e32 vcc, 0, v53
	v_add_u32_e32 v12, -1, v8
	v_fma_f32 v13, -v12, v8, v7
	v_cmp_ge_f32_e64 s[12:13], 0, v13
	v_add_u32_e32 v13, 1, v8
	v_cndmask_b32_e64 v12, v8, v12, s[12:13]
	v_fma_f32 v8, -v13, v8, v7
	v_cmp_lt_f32_e64 s[12:13], 0, v8
	v_cndmask_b32_e64 v8, v12, v13, s[12:13]
	v_mul_f32_e32 v12, 0x37800000, v8
	v_cndmask_b32_e64 v8, v8, v12, s[10:11]
	v_cmp_class_f32_e64 s[10:11], v7, v14
	v_cndmask_b32_e64 v7, v8, v7, s[10:11]
	v_cndmask_b32_e64 v55, |v7|, -|v7|, vcc
	v_add_co_u32_e32 v34, vcc, v20, v32
	v_addc_co_u32_e32 v35, vcc, v4, v33, vcc
	flat_load_dword v7, v[34:35]
	v_add_f32_e32 v8, v53, v55
	v_div_scale_f32 v12, s[10:11], v8, v8, v24
	ds_write2_b32 v25, v25, v52 offset0:2 offset1:7
	v_rcp_f32_e32 v13, v12
	v_fma_f32 v16, -v12, v13, 1.0
	v_fmac_f32_e32 v13, v16, v13
	v_div_scale_f32 v16, vcc, v24, v8, v24
	v_mul_f32_e32 v17, v16, v13
	v_fma_f32 v18, -v12, v17, v16
	v_fmac_f32_e32 v17, v18, v13
	v_fma_f32 v12, -v12, v17, v16
	v_div_fmas_f32 v12, v12, v13, v17
	v_cmp_lt_i32_e32 vcc, v46, v54
	v_div_fixup_f32 v8, v12, v8, v24
	s_waitcnt vmcnt(0) lgkmcnt(0)
	v_sub_f32_e32 v7, v7, v50
	v_add_f32_e32 v24, v7, v8
	s_and_saveexec_b64 s[12:13], vcc
	s_cbranch_execz .LBB6_173
; %bb.147:                              ;   in Loop: Header=BB6_132 Depth=2
	v_add_co_u32_e32 v7, vcc, v5, v32
	v_addc_co_u32_e32 v8, vcc, v6, v33, vcc
	flat_load_dword v53, v[7:8]
	v_mov_b32_e32 v18, 0
	v_mov_b32_e32 v50, 1.0
	s_waitcnt vmcnt(0) lgkmcnt(0)
	v_cmp_neq_f32_e32 vcc, 0, v53
	s_and_saveexec_b64 s[40:41], vcc
	s_cbranch_execz .LBB6_155
; %bb.148:                              ;   in Loop: Header=BB6_132 Depth=2
	v_mov_b32_e32 v50, 0
	v_cmp_neq_f32_e32 vcc, 0, v24
	v_mov_b32_e32 v18, 1.0
	s_and_saveexec_b64 s[42:43], vcc
	s_cbranch_execz .LBB6_154
; %bb.149:                              ;   in Loop: Header=BB6_132 Depth=2
	v_cmp_ngt_f32_e64 s[10:11], |v53|, |v24|
                                        ; implicit-def: $vgpr18
                                        ; implicit-def: $vgpr50
	s_and_saveexec_b64 s[44:45], s[10:11]
	s_xor_b64 s[44:45], exec, s[44:45]
	s_cbranch_execz .LBB6_151
; %bb.150:                              ;   in Loop: Header=BB6_132 Depth=2
	v_div_scale_f32 v7, s[10:11], v24, v24, -v53
	v_div_scale_f32 v8, vcc, -v53, v24, -v53
	v_rcp_f32_e32 v12, v7
	v_fma_f32 v13, -v7, v12, 1.0
	v_fmac_f32_e32 v12, v13, v12
	v_mul_f32_e32 v13, v8, v12
	v_fma_f32 v16, -v7, v13, v8
	v_fmac_f32_e32 v13, v16, v12
	v_fma_f32 v7, -v7, v13, v8
	v_div_fmas_f32 v7, v7, v12, v13
	v_div_fixup_f32 v7, v7, v24, -v53
	v_fma_f32 v8, v7, v7, 1.0
	v_mul_f32_e32 v12, 0x4f800000, v8
	v_cmp_gt_f32_e32 vcc, s60, v8
	v_cndmask_b32_e32 v8, v8, v12, vcc
	v_sqrt_f32_e32 v12, v8
                                        ; implicit-def: $vgpr24
	v_add_u32_e32 v13, -1, v12
	v_add_u32_e32 v16, 1, v12
	v_fma_f32 v17, -v13, v12, v8
	v_fma_f32 v18, -v16, v12, v8
	v_cmp_ge_f32_e64 s[10:11], 0, v17
	v_cndmask_b32_e64 v12, v12, v13, s[10:11]
	v_cmp_lt_f32_e64 s[10:11], 0, v18
	v_cndmask_b32_e64 v12, v12, v16, s[10:11]
	v_mul_f32_e32 v13, 0x37800000, v12
	v_cndmask_b32_e32 v12, v12, v13, vcc
	v_cmp_class_f32_e32 vcc, v8, v14
	v_cndmask_b32_e32 v8, v12, v8, vcc
	v_div_scale_f32 v12, s[10:11], v8, v8, 1.0
	v_div_scale_f32 v13, vcc, 1.0, v8, 1.0
	v_rcp_f32_e32 v16, v12
	v_fma_f32 v17, -v12, v16, 1.0
	v_fmac_f32_e32 v16, v17, v16
	v_mul_f32_e32 v17, v13, v16
	v_fma_f32 v18, -v12, v17, v13
	v_fmac_f32_e32 v17, v18, v16
	v_fma_f32 v12, -v12, v17, v13
	v_div_fmas_f32 v12, v12, v16, v17
	v_div_fixup_f32 v50, v12, v8, 1.0
	v_mul_f32_e32 v18, v7, v50
.LBB6_151:                              ;   in Loop: Header=BB6_132 Depth=2
	s_andn2_saveexec_b64 s[44:45], s[44:45]
	s_cbranch_execz .LBB6_153
; %bb.152:                              ;   in Loop: Header=BB6_132 Depth=2
	v_div_scale_f32 v7, s[10:11], v53, v53, -v24
	v_div_scale_f32 v8, vcc, -v24, v53, -v24
	v_rcp_f32_e32 v12, v7
	v_fma_f32 v13, -v7, v12, 1.0
	v_fmac_f32_e32 v12, v13, v12
	v_mul_f32_e32 v13, v8, v12
	v_fma_f32 v16, -v7, v13, v8
	v_fmac_f32_e32 v13, v16, v12
	v_fma_f32 v7, -v7, v13, v8
	v_div_fmas_f32 v7, v7, v12, v13
	v_div_fixup_f32 v7, v7, v53, -v24
	v_fma_f32 v8, v7, v7, 1.0
	v_mul_f32_e32 v12, 0x4f800000, v8
	v_cmp_gt_f32_e32 vcc, s60, v8
	v_cndmask_b32_e32 v8, v8, v12, vcc
	v_sqrt_f32_e32 v12, v8
	v_add_u32_e32 v13, -1, v12
	v_add_u32_e32 v16, 1, v12
	v_fma_f32 v17, -v13, v12, v8
	v_fma_f32 v18, -v16, v12, v8
	v_cmp_ge_f32_e64 s[10:11], 0, v17
	v_cndmask_b32_e64 v12, v12, v13, s[10:11]
	v_cmp_lt_f32_e64 s[10:11], 0, v18
	v_cndmask_b32_e64 v12, v12, v16, s[10:11]
	v_mul_f32_e32 v13, 0x37800000, v12
	v_cndmask_b32_e32 v12, v12, v13, vcc
	v_cmp_class_f32_e32 vcc, v8, v14
	v_cndmask_b32_e32 v8, v12, v8, vcc
	v_div_scale_f32 v12, s[10:11], v8, v8, 1.0
	v_div_scale_f32 v13, vcc, 1.0, v8, 1.0
	v_rcp_f32_e32 v16, v12
	v_fma_f32 v17, -v12, v16, 1.0
	v_fmac_f32_e32 v16, v17, v16
	v_mul_f32_e32 v17, v13, v16
	v_fma_f32 v18, -v12, v17, v13
	v_fmac_f32_e32 v17, v18, v16
	v_fma_f32 v12, -v12, v17, v13
	v_div_fmas_f32 v12, v12, v16, v17
	v_div_fixup_f32 v18, v12, v8, 1.0
	v_mul_f32_e32 v50, v7, v18
.LBB6_153:                              ;   in Loop: Header=BB6_132 Depth=2
	s_or_b64 exec, exec, s[44:45]
.LBB6_154:                              ;   in Loop: Header=BB6_132 Depth=2
	s_or_b64 exec, exec, s[42:43]
.LBB6_155:                              ;   in Loop: Header=BB6_132 Depth=2
	s_or_b64 exec, exec, s[40:41]
	flat_load_dwordx2 v[7:8], v[34:35]
	v_add_f32_e32 v12, v50, v50
	v_add_u32_e32 v52, 1, v46
	v_xor_b32_e32 v51, 0x80000000, v18
	s_waitcnt vmcnt(0) lgkmcnt(0)
	v_sub_f32_e32 v8, v8, v7
	v_mul_f32_e32 v8, v18, v8
	v_fma_f32 v8, v53, v12, -v8
	v_mul_f32_e64 v12, v8, -v18
	v_fma_f32 v7, v8, -v18, v7
	ds_write_b32 v25, v12 offset:8
	flat_store_dword v[34:35], v7
	buffer_load_dword v7, off, s[0:3], s32 offset:80 ; 4-byte Folded Reload
	v_fma_f32 v24, v50, v8, -v53
	buffer_load_dword v8, off, s[0:3], s32 offset:76 ; 4-byte Folded Reload
	s_waitcnt vmcnt(0)
	v_add_co_u32_e32 v7, vcc, v7, v32
	v_addc_co_u32_e32 v8, vcc, v8, v33, vcc
	flat_store_dword v[7:8], v50
	buffer_load_dword v12, off, s[0:3], s32 offset:68 ; 4-byte Folded Reload
	buffer_load_dword v13, off, s[0:3], s32 offset:72 ; 4-byte Folded Reload
	s_waitcnt vmcnt(0)
	v_add_co_u32_e32 v7, vcc, v7, v12
	v_addc_co_u32_e32 v8, vcc, v8, v13, vcc
	v_cmp_lt_i32_e32 vcc, v52, v54
	flat_store_dword v[7:8], v51
	s_and_saveexec_b64 s[40:41], vcc
	s_cbranch_execz .LBB6_172
; %bb.156:                              ;   in Loop: Header=BB6_132 Depth=2
	buffer_load_dword v12, off, s[0:3], s32 offset:80 ; 4-byte Folded Reload
	v_ashrrev_i32_e32 v53, 31, v52
	v_lshlrev_b64 v[7:8], 2, v[52:53]
	s_mov_b32 s58, 1
	s_mov_b64 s[42:43], 0
	s_waitcnt vmcnt(0)
	v_add_co_u32_e32 v32, vcc, v12, v7
	buffer_load_dword v12, off, s[0:3], s32 offset:76 ; 4-byte Folded Reload
	s_waitcnt vmcnt(0)
	v_addc_co_u32_e32 v33, vcc, v12, v8, vcc
	buffer_load_dword v12, off, s[0:3], s32 offset:124 ; 4-byte Folded Reload
	v_add_co_u32_e32 v52, vcc, v20, v7
	v_addc_co_u32_e32 v53, vcc, v4, v8, vcc
	s_waitcnt vmcnt(0)
	v_add_co_u32_e32 v34, vcc, v12, v7
	buffer_load_dword v7, off, s[0:3], s32 offset:128 ; 4-byte Folded Reload
	s_waitcnt vmcnt(0)
	v_addc_co_u32_e32 v35, vcc, v7, v8, vcc
	s_branch .LBB6_158
.LBB6_157:                              ;   in Loop: Header=BB6_158 Depth=3
	flat_load_dwordx2 v[7:8], v[52:53]
	ds_read_b32 v12, v25 offset:8
	v_mul_f32_e32 v16, v50, v55
	v_add_f32_e32 v17, v40, v40
	v_add_co_u32_e32 v34, vcc, 4, v34
	v_addc_co_u32_e32 v35, vcc, 0, v35, vcc
	v_xor_b32_e32 v51, 0x80000000, v19
	s_add_i32 s58, s58, 1
	v_mov_b32_e32 v50, v40
	s_waitcnt vmcnt(0) lgkmcnt(0)
	v_sub_f32_e32 v7, v7, v12
	v_sub_f32_e32 v8, v8, v7
	v_mul_f32_e32 v8, v19, v8
	v_fma_f32 v8, v16, v17, -v8
	v_mul_f32_e64 v17, v8, -v19
	v_fma_f32 v7, v8, -v19, v7
	ds_write_b32 v25, v17 offset:8
	flat_store_dword v[52:53], v7
	flat_store_dword v[32:33], v40
	v_fma_f32 v24, v40, v8, -v16
	buffer_load_dword v7, off, s[0:3], s32 offset:68 ; 4-byte Folded Reload
	buffer_load_dword v8, off, s[0:3], s32 offset:72 ; 4-byte Folded Reload
	v_add_co_u32_e32 v12, vcc, 4, v52
	v_addc_co_u32_e32 v13, vcc, 0, v53, vcc
	v_mov_b32_e32 v53, v13
	v_mov_b32_e32 v52, v12
	s_waitcnt vmcnt(0)
	v_add_co_u32_e32 v7, vcc, v32, v7
	v_addc_co_u32_e32 v8, vcc, v33, v8, vcc
	v_add_co_u32_e32 v32, vcc, 4, v32
	flat_store_dword v[7:8], v51
	v_add_u32_e32 v7, s58, v46
	v_addc_co_u32_e32 v33, vcc, 0, v33, vcc
	v_cmp_ge_i32_e32 vcc, v7, v54
	s_or_b64 s[42:43], vcc, s[42:43]
	s_andn2_b64 exec, exec, s[42:43]
	s_cbranch_execz .LBB6_171
.LBB6_158:                              ;   Parent Loop BB6_6 Depth=1
                                        ;     Parent Loop BB6_132 Depth=2
                                        ; =>    This Inner Loop Header: Depth=3
	flat_load_dword v55, v[34:35] offset:4
	v_mov_b32_e32 v19, 0
	v_mov_b32_e32 v40, 1.0
	s_waitcnt vmcnt(0) lgkmcnt(0)
	v_mul_f32_e32 v18, v51, v55
	v_cmp_neq_f32_e32 vcc, 0, v18
	s_and_saveexec_b64 s[44:45], vcc
	s_cbranch_execz .LBB6_168
; %bb.159:                              ;   in Loop: Header=BB6_158 Depth=3
	v_cmp_neq_f32_e32 vcc, 0, v24
	v_xor_b32_e32 v17, 0x80000000, v18
                                        ; implicit-def: $vgpr19
                                        ; implicit-def: $vgpr40
	s_and_saveexec_b64 s[10:11], vcc
	s_xor_b64 s[46:47], exec, s[10:11]
	s_cbranch_execz .LBB6_165
; %bb.160:                              ;   in Loop: Header=BB6_158 Depth=3
	v_cmp_ngt_f32_e64 s[10:11], |v18|, |v24|
                                        ; implicit-def: $vgpr19
                                        ; implicit-def: $vgpr40
	s_and_saveexec_b64 s[56:57], s[10:11]
	s_xor_b64 s[56:57], exec, s[56:57]
	s_cbranch_execz .LBB6_162
; %bb.161:                              ;   in Loop: Header=BB6_158 Depth=3
	v_div_scale_f32 v7, s[10:11], v24, v24, -v18
	v_div_scale_f32 v8, vcc, -v18, v24, -v18
	v_rcp_f32_e32 v12, v7
	v_fma_f32 v13, -v7, v12, 1.0
	v_fmac_f32_e32 v12, v13, v12
	v_mul_f32_e32 v13, v8, v12
	v_fma_f32 v16, -v7, v13, v8
	v_fmac_f32_e32 v13, v16, v12
	v_fma_f32 v7, -v7, v13, v8
	v_div_fmas_f32 v7, v7, v12, v13
	v_div_fixup_f32 v7, v7, v24, -v18
	v_fma_f32 v8, v7, v7, 1.0
	v_mul_f32_e32 v12, 0x4f800000, v8
	v_cmp_gt_f32_e32 vcc, s60, v8
	v_cndmask_b32_e32 v8, v8, v12, vcc
	v_sqrt_f32_e32 v12, v8
	v_add_u32_e32 v13, -1, v12
	v_add_u32_e32 v16, 1, v12
	v_fma_f32 v17, -v13, v12, v8
	v_fma_f32 v19, -v16, v12, v8
	v_cmp_ge_f32_e64 s[10:11], 0, v17
	v_cndmask_b32_e64 v12, v12, v13, s[10:11]
	v_cmp_lt_f32_e64 s[10:11], 0, v19
	v_cndmask_b32_e64 v12, v12, v16, s[10:11]
	v_mul_f32_e32 v13, 0x37800000, v12
	v_cndmask_b32_e32 v12, v12, v13, vcc
	v_cmp_class_f32_e32 vcc, v8, v14
	v_cndmask_b32_e32 v8, v12, v8, vcc
	v_div_scale_f32 v12, s[10:11], v8, v8, 1.0
	v_div_scale_f32 v13, vcc, 1.0, v8, 1.0
	v_rcp_f32_e32 v16, v12
	v_fma_f32 v17, -v12, v16, 1.0
	v_fmac_f32_e32 v16, v17, v16
	v_mul_f32_e32 v17, v13, v16
	v_fma_f32 v19, -v12, v17, v13
	v_fmac_f32_e32 v17, v19, v16
	v_fma_f32 v12, -v12, v17, v13
	v_div_fmas_f32 v12, v12, v16, v17
	v_div_fixup_f32 v40, v12, v8, 1.0
	v_mul_f32_e32 v19, v7, v40
.LBB6_162:                              ;   in Loop: Header=BB6_158 Depth=3
	s_andn2_saveexec_b64 s[56:57], s[56:57]
	s_cbranch_execz .LBB6_164
; %bb.163:                              ;   in Loop: Header=BB6_158 Depth=3
	v_div_scale_f32 v7, s[10:11], v18, v18, -v24
	v_div_scale_f32 v8, vcc, -v24, v18, -v24
	v_rcp_f32_e32 v12, v7
	v_fma_f32 v13, -v7, v12, 1.0
	v_fmac_f32_e32 v12, v13, v12
	v_mul_f32_e32 v13, v8, v12
	v_fma_f32 v16, -v7, v13, v8
	v_fmac_f32_e32 v13, v16, v12
	v_fma_f32 v7, -v7, v13, v8
	v_div_fmas_f32 v7, v7, v12, v13
	v_div_fixup_f32 v7, v7, v18, -v24
	v_fma_f32 v8, v7, v7, 1.0
	v_mul_f32_e32 v12, 0x4f800000, v8
	v_cmp_gt_f32_e32 vcc, s60, v8
	v_cndmask_b32_e32 v8, v8, v12, vcc
	v_sqrt_f32_e32 v12, v8
	v_add_u32_e32 v13, -1, v12
	v_add_u32_e32 v16, 1, v12
	v_fma_f32 v17, -v13, v12, v8
	v_fma_f32 v19, -v16, v12, v8
	v_cmp_ge_f32_e64 s[10:11], 0, v17
	v_cndmask_b32_e64 v12, v12, v13, s[10:11]
	v_cmp_lt_f32_e64 s[10:11], 0, v19
	v_cndmask_b32_e64 v12, v12, v16, s[10:11]
	v_mul_f32_e32 v13, 0x37800000, v12
	v_cndmask_b32_e32 v12, v12, v13, vcc
	v_cmp_class_f32_e32 vcc, v8, v14
	v_cndmask_b32_e32 v8, v12, v8, vcc
	v_div_scale_f32 v12, s[10:11], v8, v8, 1.0
	v_div_scale_f32 v13, vcc, 1.0, v8, 1.0
	v_rcp_f32_e32 v16, v12
	v_fma_f32 v17, -v12, v16, 1.0
	v_fmac_f32_e32 v16, v17, v16
	v_mul_f32_e32 v17, v13, v16
	v_fma_f32 v19, -v12, v17, v13
	v_fmac_f32_e32 v17, v19, v16
	v_fma_f32 v12, -v12, v17, v13
	v_div_fmas_f32 v12, v12, v16, v17
	v_div_fixup_f32 v19, v12, v8, 1.0
	v_mul_f32_e32 v40, v7, v19
.LBB6_164:                              ;   in Loop: Header=BB6_158 Depth=3
	s_or_b64 exec, exec, s[56:57]
	v_mul_f32_e32 v7, v18, v19
	v_fma_f32 v17, v24, v40, -v7
.LBB6_165:                              ;   in Loop: Header=BB6_158 Depth=3
	s_andn2_saveexec_b64 s[10:11], s[46:47]
; %bb.166:                              ;   in Loop: Header=BB6_158 Depth=3
	v_mov_b32_e32 v40, 0
	v_mov_b32_e32 v19, 1.0
; %bb.167:                              ;   in Loop: Header=BB6_158 Depth=3
	s_or_b64 exec, exec, s[10:11]
	v_mov_b32_e32 v24, v17
.LBB6_168:                              ;   in Loop: Header=BB6_158 Depth=3
	s_or_b64 exec, exec, s[44:45]
	s_cmp_eq_u32 s58, 0
	s_cbranch_scc1 .LBB6_157
; %bb.169:                              ;   in Loop: Header=BB6_158 Depth=3
	flat_store_dword v[34:35], v24
	s_branch .LBB6_157
.LBB6_170:                              ;   in Loop: Header=BB6_132 Depth=2
	s_andn2_b64 s[12:13], s[12:13], exec
	ds_write2_b32 v25, v46, v54 offset0:1 offset1:4
	s_or_b64 exec, exec, s[26:27]
	s_and_saveexec_b64 s[10:11], s[12:13]
	s_cbranch_execnz .LBB6_143
	s_branch .LBB6_144
.LBB6_171:                              ;   in Loop: Header=BB6_132 Depth=2
	s_or_b64 exec, exec, s[42:43]
.LBB6_172:                              ;   in Loop: Header=BB6_132 Depth=2
	s_or_b64 exec, exec, s[40:41]
	ds_read_b32 v51, v25 offset:8
.LBB6_173:                              ;   in Loop: Header=BB6_132 Depth=2
	s_or_b64 exec, exec, s[12:13]
	flat_load_dword v12, v[42:43]
	v_add_co_u32_e32 v7, vcc, v5, v44
	v_addc_co_u32_e32 v8, vcc, v6, v45, vcc
	v_add_co_u32_e32 v7, vcc, -4, v7
	v_addc_co_u32_e32 v8, vcc, -1, v8, vcc
                                        ; implicit-def: $vgpr44_vgpr45
                                        ; implicit-def: $vgpr54
                                        ; implicit-def: $vgpr50
                                        ; implicit-def: $vgpr46
	s_waitcnt vmcnt(0) lgkmcnt(0)
	v_sub_f32_e32 v12, v12, v51
	flat_store_dword v[42:43], v12
	flat_store_dword v[7:8], v24
                                        ; implicit-def: $vgpr42
.LBB6_174:                              ;   in Loop: Header=BB6_132 Depth=2
	s_andn2_saveexec_b64 s[28:29], s[28:29]
	s_cbranch_execz .LBB6_207
; %bb.175:                              ;   in Loop: Header=BB6_132 Depth=2
	v_ashrrev_i32_e32 v47, 31, v46
	v_lshlrev_b64 v[40:41], 2, v[46:47]
                                        ; implicit-def: $vgpr33
	v_add_co_u32_e32 v7, vcc, v20, v40
	v_addc_co_u32_e32 v8, vcc, v4, v41, vcc
	v_add_co_u32_e32 v12, vcc, v5, v40
	v_addc_co_u32_e32 v13, vcc, v6, v41, vcc
	flat_load_dword v35, v[7:8]
	flat_load_dword v34, v[12:13]
	s_waitcnt vmcnt(0) lgkmcnt(0)
	v_sub_f32_e32 v32, v35, v50
	v_add_f32_e32 v24, v34, v34
	v_and_b32_e32 v18, 0x7fffffff, v24
	v_cmp_ngt_f32_e64 s[10:11], |v32|, |v24|
	s_and_saveexec_b64 s[12:13], s[10:11]
	s_xor_b64 s[12:13], exec, s[12:13]
	s_cbranch_execz .LBB6_181
; %bb.176:                              ;   in Loop: Header=BB6_132 Depth=2
	v_cmp_nlt_f32_e64 s[10:11], |v32|, |v24|
                                        ; implicit-def: $vgpr33
	s_and_saveexec_b64 s[40:41], s[10:11]
	s_xor_b64 s[10:11], exec, s[40:41]
	s_cbranch_execz .LBB6_178
; %bb.177:                              ;   in Loop: Header=BB6_132 Depth=2
	v_cvt_f64_f32_e32 v[7:8], v18
                                        ; implicit-def: $vgpr18
	v_mul_f64 v[7:8], v[7:8], s[20:21]
	v_cvt_f32_f64_e32 v33, v[7:8]
.LBB6_178:                              ;   in Loop: Header=BB6_132 Depth=2
	s_andn2_saveexec_b64 s[40:41], s[10:11]
	s_cbranch_execz .LBB6_180
; %bb.179:                              ;   in Loop: Header=BB6_132 Depth=2
	v_and_b32_e32 v7, 0x7fffffff, v32
	v_div_scale_f32 v8, s[10:11], v18, v18, v7
	v_div_scale_f32 v7, vcc, v7, v18, v7
	v_rcp_f32_e32 v12, v8
	v_fma_f32 v13, -v8, v12, 1.0
	v_fmac_f32_e32 v12, v13, v12
	v_mul_f32_e32 v13, v7, v12
	v_fma_f32 v16, -v8, v13, v7
	v_fmac_f32_e32 v13, v16, v12
	v_fma_f32 v7, -v8, v13, v7
	v_div_fmas_f32 v7, v7, v12, v13
	v_div_fixup_f32 v7, v7, |v24|, |v32|
	v_fma_f32 v7, v7, v7, 1.0
	v_cmp_gt_f32_e32 vcc, s60, v7
	v_mul_f32_e32 v8, 0x4f800000, v7
	v_cndmask_b32_e32 v7, v7, v8, vcc
	v_sqrt_f32_e32 v8, v7
	v_add_u32_e32 v12, -1, v8
	v_fma_f32 v13, -v12, v8, v7
	v_cmp_ge_f32_e64 s[10:11], 0, v13
	v_add_u32_e32 v13, 1, v8
	v_cndmask_b32_e64 v12, v8, v12, s[10:11]
	v_fma_f32 v8, -v13, v8, v7
	v_cmp_lt_f32_e64 s[10:11], 0, v8
	v_cndmask_b32_e64 v8, v12, v13, s[10:11]
	v_mul_f32_e32 v12, 0x37800000, v8
	v_cndmask_b32_e32 v8, v8, v12, vcc
	v_cmp_class_f32_e32 vcc, v7, v14
	v_cndmask_b32_e32 v7, v8, v7, vcc
	v_mul_f32_e64 v33, |v24|, v7
.LBB6_180:                              ;   in Loop: Header=BB6_132 Depth=2
	s_or_b64 exec, exec, s[40:41]
                                        ; implicit-def: $vgpr18
.LBB6_181:                              ;   in Loop: Header=BB6_132 Depth=2
	s_andn2_saveexec_b64 s[12:13], s[12:13]
	s_cbranch_execz .LBB6_183
; %bb.182:                              ;   in Loop: Header=BB6_132 Depth=2
	v_and_b32_e32 v7, 0x7fffffff, v32
	v_div_scale_f32 v8, s[10:11], v7, v7, v18
	v_div_scale_f32 v7, vcc, v18, v7, v18
	v_rcp_f32_e32 v12, v8
	v_fma_f32 v13, -v8, v12, 1.0
	v_fmac_f32_e32 v12, v13, v12
	v_mul_f32_e32 v13, v7, v12
	v_fma_f32 v16, -v8, v13, v7
	v_fmac_f32_e32 v13, v16, v12
	v_fma_f32 v7, -v8, v13, v7
	v_div_fmas_f32 v7, v7, v12, v13
	v_div_fixup_f32 v7, v7, |v32|, |v24|
	v_fma_f32 v7, v7, v7, 1.0
	v_cmp_gt_f32_e32 vcc, s60, v7
	v_mul_f32_e32 v8, 0x4f800000, v7
	v_cndmask_b32_e32 v7, v7, v8, vcc
	v_sqrt_f32_e32 v8, v7
	v_add_u32_e32 v12, -1, v8
	v_fma_f32 v13, -v12, v8, v7
	v_cmp_ge_f32_e64 s[10:11], 0, v13
	v_add_u32_e32 v13, 1, v8
	v_cndmask_b32_e64 v12, v8, v12, s[10:11]
	v_fma_f32 v8, -v13, v8, v7
	v_cmp_lt_f32_e64 s[10:11], 0, v8
	v_cndmask_b32_e64 v8, v12, v13, s[10:11]
	v_mul_f32_e32 v12, 0x37800000, v8
	v_cndmask_b32_e32 v8, v8, v12, vcc
	v_cmp_class_f32_e32 vcc, v7, v14
	v_cndmask_b32_e32 v7, v8, v7, vcc
	v_mul_f32_e64 v33, |v32|, v7
.LBB6_183:                              ;   in Loop: Header=BB6_132 Depth=2
	s_or_b64 exec, exec, s[12:13]
	v_add_f32_e32 v19, v35, v50
	v_cmp_gt_f32_e64 vcc, |v35|, |v50|
	v_cndmask_b32_e32 v18, v35, v50, vcc
	v_cndmask_b32_e32 v50, v50, v35, vcc
	v_cmp_ngt_f32_e32 vcc, 0, v19
                                        ; implicit-def: $vgpr47
	s_and_saveexec_b64 s[10:11], vcc
	s_xor_b64 s[10:11], exec, s[10:11]
	s_cbranch_execz .LBB6_189
; %bb.184:                              ;   in Loop: Header=BB6_132 Depth=2
	v_cmp_nlt_f32_e32 vcc, 0, v19
                                        ; implicit-def: $vgpr47
	s_and_saveexec_b64 s[12:13], vcc
	s_xor_b64 s[12:13], exec, s[12:13]
; %bb.185:                              ;   in Loop: Header=BB6_132 Depth=2
	v_mul_f32_e32 v46, 0.5, v33
	v_mul_f32_e32 v47, -0.5, v33
                                        ; implicit-def: $vgpr19
                                        ; implicit-def: $vgpr50
                                        ; implicit-def: $vgpr18
                                        ; implicit-def: $vgpr34
; %bb.186:                              ;   in Loop: Header=BB6_132 Depth=2
	s_andn2_saveexec_b64 s[12:13], s[12:13]
	s_cbranch_execz .LBB6_188
; %bb.187:                              ;   in Loop: Header=BB6_132 Depth=2
	v_add_f32_e32 v7, v19, v33
	v_mul_f32_e32 v46, 0.5, v7
	v_cvt_f64_f32_e32 v[7:8], v50
	v_cvt_f64_f32_e32 v[12:13], v46
	v_div_scale_f64 v[16:17], s[40:41], v[12:13], v[12:13], v[7:8]
	v_rcp_f64_e32 v[30:31], v[16:17]
	v_fma_f64 v[50:51], -v[16:17], v[30:31], 1.0
	v_fma_f64 v[30:31], v[30:31], v[50:51], v[30:31]
	v_fma_f64 v[50:51], -v[16:17], v[30:31], 1.0
	v_fma_f64 v[30:31], v[30:31], v[50:51], v[30:31]
	v_div_scale_f64 v[50:51], vcc, v[7:8], v[12:13], v[7:8]
	v_mul_f64 v[52:53], v[50:51], v[30:31]
	v_fma_f64 v[16:17], -v[16:17], v[52:53], v[50:51]
	s_nop 1
	v_div_fmas_f64 v[16:17], v[16:17], v[30:31], v[52:53]
	v_div_fixup_f64 v[7:8], v[16:17], v[12:13], v[7:8]
	v_cvt_f64_f32_e32 v[16:17], v18
	v_cvt_f64_f32_e32 v[18:19], v34
	v_div_scale_f64 v[30:31], s[40:41], v[12:13], v[12:13], v[18:19]
	v_rcp_f64_e32 v[34:35], v[30:31]
	v_fma_f64 v[50:51], -v[30:31], v[34:35], 1.0
	v_fma_f64 v[34:35], v[34:35], v[50:51], v[34:35]
	v_fma_f64 v[50:51], -v[30:31], v[34:35], 1.0
	v_fma_f64 v[34:35], v[34:35], v[50:51], v[34:35]
	v_div_scale_f64 v[50:51], vcc, v[18:19], v[12:13], v[18:19]
	v_mul_f64 v[52:53], v[50:51], v[34:35]
	v_fma_f64 v[30:31], -v[30:31], v[52:53], v[50:51]
	s_nop 1
	v_div_fmas_f64 v[30:31], v[30:31], v[34:35], v[52:53]
	v_div_fixup_f64 v[12:13], v[30:31], v[12:13], v[18:19]
	v_mul_f64 v[12:13], v[12:13], v[18:19]
	v_fma_f64 v[7:8], v[7:8], v[16:17], -v[12:13]
	v_cvt_f32_f64_e32 v47, v[7:8]
.LBB6_188:                              ;   in Loop: Header=BB6_132 Depth=2
	s_or_b64 exec, exec, s[12:13]
                                        ; implicit-def: $vgpr19
                                        ; implicit-def: $vgpr50
                                        ; implicit-def: $vgpr18
                                        ; implicit-def: $vgpr34
.LBB6_189:                              ;   in Loop: Header=BB6_132 Depth=2
	s_or_saveexec_b64 s[10:11], s[10:11]
	v_mov_b32_e32 v35, 1
	s_xor_b64 exec, exec, s[10:11]
	s_cbranch_execz .LBB6_191
; %bb.190:                              ;   in Loop: Header=BB6_132 Depth=2
	v_sub_f32_e32 v7, v19, v33
	v_mul_f32_e32 v46, 0.5, v7
	v_cvt_f64_f32_e32 v[7:8], v50
	v_cvt_f64_f32_e32 v[12:13], v46
	v_div_scale_f64 v[16:17], s[12:13], v[12:13], v[12:13], v[7:8]
	v_rcp_f64_e32 v[30:31], v[16:17]
	v_fma_f64 v[50:51], -v[16:17], v[30:31], 1.0
	v_fma_f64 v[30:31], v[30:31], v[50:51], v[30:31]
	v_fma_f64 v[50:51], -v[16:17], v[30:31], 1.0
	v_fma_f64 v[30:31], v[30:31], v[50:51], v[30:31]
	v_div_scale_f64 v[50:51], vcc, v[7:8], v[12:13], v[7:8]
	v_mul_f64 v[52:53], v[50:51], v[30:31]
	v_fma_f64 v[16:17], -v[16:17], v[52:53], v[50:51]
	s_nop 1
	v_div_fmas_f64 v[16:17], v[16:17], v[30:31], v[52:53]
	v_div_fixup_f64 v[7:8], v[16:17], v[12:13], v[7:8]
	v_cvt_f64_f32_e32 v[16:17], v18
	v_cvt_f64_f32_e32 v[18:19], v34
	v_div_scale_f64 v[30:31], s[12:13], v[12:13], v[12:13], v[18:19]
	v_rcp_f64_e32 v[34:35], v[30:31]
	v_fma_f64 v[50:51], -v[30:31], v[34:35], 1.0
	v_fma_f64 v[34:35], v[34:35], v[50:51], v[34:35]
	v_fma_f64 v[50:51], -v[30:31], v[34:35], 1.0
	v_fma_f64 v[34:35], v[34:35], v[50:51], v[34:35]
	v_div_scale_f64 v[50:51], vcc, v[18:19], v[12:13], v[18:19]
	v_mul_f64 v[52:53], v[50:51], v[34:35]
	v_fma_f64 v[30:31], -v[30:31], v[52:53], v[50:51]
	s_nop 1
	v_div_fmas_f64 v[30:31], v[30:31], v[34:35], v[52:53]
	v_mov_b32_e32 v35, -1
	v_div_fixup_f64 v[12:13], v[30:31], v[12:13], v[18:19]
	v_mul_f64 v[12:13], v[12:13], v[18:19]
	v_fma_f64 v[7:8], v[7:8], v[16:17], -v[12:13]
	v_cvt_f32_f64_e32 v47, v[7:8]
.LBB6_191:                              ;   in Loop: Header=BB6_132 Depth=2
	s_or_b64 exec, exec, s[10:11]
	v_cmp_nle_f32_e64 s[10:11], 0, v32
	v_cndmask_b32_e64 v7, v33, -v33, s[10:11]
	v_add_f32_e32 v18, v32, v7
	v_cmp_ngt_f32_e64 s[12:13], |v18|, |v24|
                                        ; implicit-def: $vgpr19
                                        ; implicit-def: $vgpr32
	s_and_saveexec_b64 s[40:41], s[12:13]
	s_xor_b64 s[40:41], exec, s[40:41]
	s_cbranch_execz .LBB6_195
; %bb.192:                              ;   in Loop: Header=BB6_132 Depth=2
	v_mov_b32_e32 v19, 0
	v_cmp_neq_f32_e32 vcc, 0, v24
	v_mov_b32_e32 v32, 1.0
	s_and_saveexec_b64 s[42:43], vcc
	s_cbranch_execz .LBB6_194
; %bb.193:                              ;   in Loop: Header=BB6_132 Depth=2
	v_div_scale_f32 v7, s[12:13], v24, v24, -v18
	v_div_scale_f32 v8, vcc, -v18, v24, -v18
	v_rcp_f32_e32 v12, v7
	v_fma_f32 v13, -v7, v12, 1.0
	v_fmac_f32_e32 v12, v13, v12
	v_mul_f32_e32 v13, v8, v12
	v_fma_f32 v16, -v7, v13, v8
	v_fmac_f32_e32 v13, v16, v12
	v_fma_f32 v7, -v7, v13, v8
	v_div_fmas_f32 v7, v7, v12, v13
	v_div_fixup_f32 v7, v7, v24, -v18
	v_fma_f32 v8, v7, v7, 1.0
	v_mul_f32_e32 v12, 0x4f800000, v8
	v_cmp_gt_f32_e32 vcc, s60, v8
	v_cndmask_b32_e32 v8, v8, v12, vcc
	v_sqrt_f32_e32 v12, v8
	v_add_u32_e32 v13, -1, v12
	v_add_u32_e32 v16, 1, v12
	v_fma_f32 v17, -v13, v12, v8
	v_fma_f32 v18, -v16, v12, v8
	v_cmp_ge_f32_e64 s[12:13], 0, v17
	v_cndmask_b32_e64 v12, v12, v13, s[12:13]
	v_cmp_lt_f32_e64 s[12:13], 0, v18
	v_cndmask_b32_e64 v12, v12, v16, s[12:13]
	v_mul_f32_e32 v13, 0x37800000, v12
	v_cndmask_b32_e32 v12, v12, v13, vcc
	v_cmp_class_f32_e32 vcc, v8, v14
	v_cndmask_b32_e32 v8, v12, v8, vcc
	v_div_scale_f32 v12, s[12:13], v8, v8, 1.0
	v_div_scale_f32 v13, vcc, 1.0, v8, 1.0
	v_rcp_f32_e32 v16, v12
	v_fma_f32 v17, -v12, v16, 1.0
	v_fmac_f32_e32 v16, v17, v16
	v_mul_f32_e32 v17, v13, v16
	v_fma_f32 v18, -v12, v17, v13
	v_fmac_f32_e32 v17, v18, v16
	v_fma_f32 v12, -v12, v17, v13
	v_div_fmas_f32 v12, v12, v16, v17
	v_div_fixup_f32 v32, v12, v8, 1.0
	v_mul_f32_e32 v19, v7, v32
.LBB6_194:                              ;   in Loop: Header=BB6_132 Depth=2
	s_or_b64 exec, exec, s[42:43]
                                        ; implicit-def: $vgpr18
                                        ; implicit-def: $vgpr24
.LBB6_195:                              ;   in Loop: Header=BB6_132 Depth=2
	s_andn2_saveexec_b64 s[40:41], s[40:41]
	s_cbranch_execz .LBB6_197
; %bb.196:                              ;   in Loop: Header=BB6_132 Depth=2
	v_div_scale_f32 v7, s[12:13], v18, v18, -v24
	v_div_scale_f32 v8, vcc, -v24, v18, -v24
	v_rcp_f32_e32 v12, v7
	v_fma_f32 v13, -v7, v12, 1.0
	v_fmac_f32_e32 v12, v13, v12
	v_mul_f32_e32 v13, v8, v12
	v_fma_f32 v16, -v7, v13, v8
	v_fmac_f32_e32 v13, v16, v12
	v_fma_f32 v7, -v7, v13, v8
	v_div_fmas_f32 v7, v7, v12, v13
	v_div_fixup_f32 v7, v7, v18, -v24
	v_fma_f32 v8, v7, v7, 1.0
	v_mul_f32_e32 v12, 0x4f800000, v8
	v_cmp_gt_f32_e32 vcc, s60, v8
	v_cndmask_b32_e32 v8, v8, v12, vcc
	v_sqrt_f32_e32 v12, v8
	v_add_u32_e32 v13, -1, v12
	v_add_u32_e32 v16, 1, v12
	v_fma_f32 v17, -v13, v12, v8
	v_fma_f32 v18, -v16, v12, v8
	v_cmp_ge_f32_e64 s[12:13], 0, v17
	v_cndmask_b32_e64 v12, v12, v13, s[12:13]
	v_cmp_lt_f32_e64 s[12:13], 0, v18
	v_cndmask_b32_e64 v12, v12, v16, s[12:13]
	v_mul_f32_e32 v13, 0x37800000, v12
	v_cndmask_b32_e32 v12, v12, v13, vcc
	v_cmp_class_f32_e32 vcc, v8, v14
	v_cndmask_b32_e32 v8, v12, v8, vcc
	v_div_scale_f32 v12, s[12:13], v8, v8, 1.0
	v_div_scale_f32 v13, vcc, 1.0, v8, 1.0
	v_rcp_f32_e32 v16, v12
	v_fma_f32 v17, -v12, v16, 1.0
	v_fmac_f32_e32 v16, v17, v16
	v_mul_f32_e32 v17, v13, v16
	v_fma_f32 v18, -v12, v17, v13
	v_fmac_f32_e32 v17, v18, v16
	v_fma_f32 v12, -v12, v17, v13
	v_div_fmas_f32 v12, v12, v16, v17
	v_div_fixup_f32 v19, v12, v8, 1.0
	v_mul_f32_e32 v32, v7, v19
.LBB6_197:                              ;   in Loop: Header=BB6_132 Depth=2
	s_or_b64 exec, exec, s[40:41]
	v_cndmask_b32_e64 v7, 1, -1, s[10:11]
	v_cmp_eq_u32_e32 vcc, v35, v7
	buffer_load_dword v7, off, s[0:3], s32 offset:80 ; 4-byte Folded Reload
	buffer_load_dword v8, off, s[0:3], s32 offset:76 ; 4-byte Folded Reload
	v_cndmask_b32_e64 v12, v32, -v19, vcc
	v_cndmask_b32_e32 v13, v19, v32, vcc
	s_waitcnt vmcnt(1)
	v_add_co_u32_e32 v7, vcc, v7, v40
	s_waitcnt vmcnt(0)
	v_addc_co_u32_e32 v8, vcc, v8, v41, vcc
	flat_store_dword v[7:8], v12
	buffer_load_dword v16, off, s[0:3], s32 offset:68 ; 4-byte Folded Reload
	buffer_load_dword v17, off, s[0:3], s32 offset:72 ; 4-byte Folded Reload
	s_waitcnt vmcnt(0)
	v_add_co_u32_e32 v7, vcc, v7, v16
	v_addc_co_u32_e32 v8, vcc, v8, v17, vcc
	flat_store_dword v[7:8], v13
	v_add_co_u32_e32 v7, vcc, -4, v42
	v_addc_co_u32_e32 v8, vcc, -1, v43, vcc
	flat_store_dwordx2 v[7:8], v[46:47]
	v_add_co_u32_e32 v7, vcc, v5, v44
	v_addc_co_u32_e32 v8, vcc, v6, v45, vcc
	v_add_co_u32_e32 v7, vcc, -4, v7
	v_addc_co_u32_e32 v8, vcc, -1, v8, vcc
	flat_store_dword v[7:8], v25
	v_add_u32_e32 v7, -2, v54
	ds_write_b32 v25, v7
	s_or_b64 exec, exec, s[28:29]
                                        ; implicit-def: $vgpr42_vgpr43
                                        ; implicit-def: $vgpr50
                                        ; implicit-def: $vgpr54
.LBB6_198:                              ;   in Loop: Header=BB6_132 Depth=2
	s_andn2_saveexec_b64 s[10:11], s[26:27]
	s_cbranch_execz .LBB6_200
.LBB6_199:                              ;   in Loop: Header=BB6_132 Depth=2
	v_add_u32_e32 v7, -1, v54
	flat_store_dword v[42:43], v50
	ds_write_b32 v25, v7
.LBB6_200:                              ;   in Loop: Header=BB6_132 Depth=2
	s_or_b64 exec, exec, s[10:11]
.LBB6_201:                              ;   in Loop: Header=BB6_132 Depth=2
	s_or_b64 exec, exec, s[24:25]
	s_waitcnt vmcnt(0) lgkmcnt(0)
	s_barrier
	ds_read_b64 v[32:33], v25
	s_waitcnt lgkmcnt(0)
	v_cmp_eq_u32_e32 vcc, v33, v32
	v_mov_b32_e32 v54, v33
	s_cbranch_vccnz .LBB6_131
; %bb.202:                              ;   in Loop: Header=BB6_132 Depth=2
	s_and_saveexec_b64 s[12:13], s[8:9]
	s_cbranch_execz .LBB6_130
; %bb.203:                              ;   in Loop: Header=BB6_132 Depth=2
	ds_read_b32 v13, v25 offset:16
	v_ashrrev_i32_e32 v8, 31, v33
	v_mov_b32_e32 v7, v33
	v_lshlrev_b64 v[7:8], 2, v[7:8]
	v_mul_lo_u32 v12, v33, v9
	s_waitcnt lgkmcnt(0)
	v_readfirstlane_b32 s10, v13
	buffer_load_dword v13, off, s[0:3], s32 offset:80 ; 4-byte Folded Reload
	v_sub_u32_e32 v18, s10, v33
	s_mov_b64 s[24:25], 0
	v_mov_b32_e32 v52, v0
	buffer_load_dword v16, off, s[0:3], s32 offset:96 ; 4-byte Folded Reload
	s_waitcnt vmcnt(1)
	v_add_co_u32_e32 v32, vcc, v13, v7
	buffer_load_dword v7, off, s[0:3], s32 offset:76 ; 4-byte Folded Reload
	v_ashrrev_i32_e32 v13, 31, v12
	s_waitcnt vmcnt(0)
	v_addc_co_u32_e32 v33, vcc, v7, v8, vcc
	v_lshlrev_b64 v[7:8], 2, v[12:13]
	v_mad_i64_i32 v[12:13], s[10:11], v18, v9, 0
	v_add_co_u32_e32 v19, vcc, v16, v7
	buffer_load_dword v16, off, s[0:3], s32 offset:92 ; 4-byte Folded Reload
	v_lshlrev_b64 v[12:13], 2, v[12:13]
	v_cmp_lt_i32_e64 s[10:11], 0, v18
	s_waitcnt vmcnt(0)
	v_addc_co_u32_e32 v24, vcc, v16, v8, vcc
	v_add_co_u32_e32 v50, vcc, v19, v12
	buffer_load_dword v12, off, s[0:3], s32 offset:100 ; 4-byte Folded Reload
	v_addc_co_u32_e32 v51, vcc, v24, v13, vcc
	s_waitcnt vmcnt(0)
	v_add_co_u32_e32 v34, vcc, v12, v7
	buffer_load_dword v7, off, s[0:3], s32 offset:104 ; 4-byte Folded Reload
	s_waitcnt vmcnt(0)
	v_addc_co_u32_e32 v35, vcc, v7, v8, vcc
	s_branch .LBB6_205
.LBB6_204:                              ;   in Loop: Header=BB6_205 Depth=3
	v_add_co_u32_e32 v7, vcc, v50, v53
	v_addc_co_u32_e32 v8, vcc, v51, v54, vcc
	v_add_u32_e32 v52, v52, v23
	v_cmp_ge_i32_e32 vcc, v52, v2
	s_or_b64 s[24:25], vcc, s[24:25]
	v_add_co_u32_e32 v34, vcc, v34, v28
	v_addc_co_u32_e32 v35, vcc, v35, v29, vcc
	s_waitcnt vmcnt(0) lgkmcnt(0)
	flat_store_dword v[7:8], v55
	s_andn2_b64 exec, exec, s[24:25]
	s_cbranch_execz .LBB6_130
.LBB6_205:                              ;   Parent Loop BB6_6 Depth=1
                                        ;     Parent Loop BB6_132 Depth=2
                                        ; =>    This Loop Header: Depth=3
                                        ;         Child Loop BB6_206 Depth 4
	v_ashrrev_i32_e32 v53, 31, v52
	v_lshlrev_b64 v[53:54], 2, v[52:53]
	v_mov_b32_e32 v41, v33
	v_add_co_u32_e32 v7, vcc, v19, v53
	v_addc_co_u32_e32 v8, vcc, v24, v54, vcc
	flat_load_dword v55, v[7:8]
	v_mov_b32_e32 v43, v35
	s_andn2_b64 vcc, exec, s[10:11]
	v_mov_b32_e32 v40, v32
	v_mov_b32_e32 v42, v34
	;; [unrolled: 1-line block ×3, first 2 shown]
	s_cbranch_vccnz .LBB6_204
.LBB6_206:                              ;   Parent Loop BB6_6 Depth=1
                                        ;     Parent Loop BB6_132 Depth=2
                                        ;       Parent Loop BB6_205 Depth=3
                                        ; =>      This Inner Loop Header: Depth=4
	v_add_co_u32_e32 v7, vcc, v40, v3
	v_addc_co_u32_e32 v8, vcc, v41, v63, vcc
	flat_load_dword v12, v[40:41]
	flat_load_dword v13, v[7:8]
	v_add_co_u32_e32 v7, vcc, v42, v26
	v_addc_co_u32_e32 v8, vcc, v43, v27, vcc
	flat_load_dword v16, v[7:8]
	v_add_co_u32_e32 v40, vcc, 4, v40
	v_add_u32_e32 v44, -1, v44
	v_addc_co_u32_e32 v41, vcc, 0, v41, vcc
	v_cmp_eq_u32_e32 vcc, 0, v44
	s_and_b64 vcc, exec, vcc
	s_waitcnt vmcnt(0) lgkmcnt(0)
	v_mul_f32_e32 v17, v13, v16
	v_fmac_f32_e32 v17, v55, v12
	flat_store_dword v[42:43], v17
	v_mul_f32_e32 v13, v55, v13
	v_mov_b32_e32 v43, v8
	v_fma_f32 v55, v12, v16, -v13
	v_mov_b32_e32 v42, v7
	s_cbranch_vccz .LBB6_206
	s_branch .LBB6_204
.LBB6_207:                              ;   in Loop: Header=BB6_132 Depth=2
	s_or_b64 exec, exec, s[28:29]
                                        ; implicit-def: $vgpr42_vgpr43
                                        ; implicit-def: $vgpr50
                                        ; implicit-def: $vgpr54
	s_andn2_saveexec_b64 s[10:11], s[26:27]
	s_cbranch_execnz .LBB6_199
	s_branch .LBB6_200
.LBB6_208:                              ;   in Loop: Header=BB6_6 Depth=1
	s_waitcnt vmcnt(0)
	buffer_store_dword v50, off, s[0:3], s32 offset:132 ; 4-byte Folded Spill
	buffer_store_dword v42, off, s[0:3], s32 offset:136 ; 4-byte Folded Spill
	s_nop 0
	buffer_store_dword v43, off, s[0:3], s32 offset:140 ; 4-byte Folded Spill
	buffer_load_dword v7, off, s[0:3], s32 offset:84 ; 4-byte Folded Reload
	buffer_load_dword v8, off, s[0:3], s32 offset:88 ; 4-byte Folded Reload
	s_waitcnt vmcnt(1)
	buffer_store_dword v7, off, s[0:3], s32 offset:144 ; 4-byte Folded Spill
	s_waitcnt vmcnt(1)
	buffer_store_dword v8, off, s[0:3], s32 offset:148 ; 4-byte Folded Spill
	s_branch .LBB6_211
.LBB6_209:                              ;   in Loop: Header=BB6_6 Depth=1
	s_or_b64 exec, exec, s[22:23]
.LBB6_210:                              ;   in Loop: Header=BB6_6 Depth=1
	s_or_b64 exec, exec, s[14:15]
.LBB6_211:                              ;   in Loop: Header=BB6_6 Depth=1
	s_waitcnt vmcnt(0)
	s_barrier
	buffer_load_dword v17, off, s[0:3], s32 offset:160 ; 4-byte Folded Reload
	ds_read_b32 v18, v25 offset:24
	s_waitcnt vmcnt(0) lgkmcnt(0)
	v_cmp_gt_f32_e32 vcc, v18, v17
	s_mov_b64 s[10:11], exec
	buffer_load_dword v30, off, s[0:3], s32 offset:152 ; 4-byte Folded Reload
	buffer_load_dword v31, off, s[0:3], s32 offset:156 ; 4-byte Folded Reload
	;; [unrolled: 1-line block ×3, first 2 shown]
	s_and_b64 s[12:13], s[10:11], vcc
	s_mov_b64 exec, s[12:13]
	s_cbranch_execz .LBB6_217
; %bb.212:                              ;   in Loop: Header=BB6_6 Depth=1
	v_div_scale_f32 v7, s[12:13], v18, v18, v17
	v_div_scale_f32 v8, vcc, v17, v18, v17
	ds_read2_b32 v[32:33], v25 offset0:4 offset1:8
	v_rcp_f32_e32 v12, v7
	v_fma_f32 v13, -v7, v12, 1.0
	v_fmac_f32_e32 v12, v13, v12
	v_mul_f32_e32 v13, v8, v12
	v_fma_f32 v19, -v7, v13, v8
	v_fmac_f32_e32 v13, v19, v12
	v_fma_f32 v7, -v7, v13, v8
	v_div_fmas_f32 v7, v7, v12, v13
	v_div_fixup_f32 v18, v7, v18, v17
	s_and_saveexec_b64 s[12:13], s[4:5]
	s_cbranch_execz .LBB6_214
; %bb.213:                              ;   in Loop: Header=BB6_6 Depth=1
	s_waitcnt lgkmcnt(0)
	v_ashrrev_i32_e32 v8, 31, v33
	v_mov_b32_e32 v7, v33
	v_lshlrev_b64 v[7:8], 2, v[7:8]
	v_add_co_u32_e32 v7, vcc, v20, v7
	v_addc_co_u32_e32 v8, vcc, v4, v8, vcc
	flat_load_dword v12, v[7:8]
	s_waitcnt vmcnt(0) lgkmcnt(0)
	v_mul_f32_e32 v12, v18, v12
	flat_store_dword v[7:8], v12
.LBB6_214:                              ;   in Loop: Header=BB6_6 Depth=1
	s_or_b64 exec, exec, s[12:13]
	s_waitcnt lgkmcnt(0)
	v_add_u32_e32 v34, v32, v0
	v_cmp_lt_i32_e32 vcc, v34, v33
	s_and_b64 exec, exec, vcc
	s_cbranch_execz .LBB6_217
; %bb.215:                              ;   in Loop: Header=BB6_6 Depth=1
	v_ashrrev_i32_e32 v35, 31, v34
	v_lshlrev_b64 v[52:53], 2, v[34:35]
	s_mov_b64 s[12:13], 0
.LBB6_216:                              ;   Parent Loop BB6_6 Depth=1
                                        ; =>  This Inner Loop Header: Depth=2
	v_add_co_u32_e32 v7, vcc, v20, v52
	v_addc_co_u32_e32 v8, vcc, v4, v53, vcc
	flat_load_dword v12, v[7:8]
	v_add_u32_e32 v34, v34, v23
	s_waitcnt vmcnt(0) lgkmcnt(0)
	v_mul_f32_e32 v12, v18, v12
	flat_store_dword v[7:8], v12
	v_add_co_u32_e32 v7, vcc, v5, v52
	v_addc_co_u32_e32 v8, vcc, v6, v53, vcc
	flat_load_dword v12, v[7:8]
	v_add_co_u32_e32 v52, vcc, v52, v28
	v_addc_co_u32_e32 v53, vcc, v53, v29, vcc
	v_cmp_ge_i32_e32 vcc, v34, v33
	s_or_b64 s[12:13], vcc, s[12:13]
	s_waitcnt vmcnt(0) lgkmcnt(0)
	v_mul_f32_e32 v12, v18, v12
	flat_store_dword v[7:8], v12
	s_andn2_b64 exec, exec, s[12:13]
	s_cbranch_execnz .LBB6_216
.LBB6_217:                              ;   in Loop: Header=BB6_6 Depth=1
	s_or_b64 exec, exec, s[10:11]
	ds_read_b32 v18, v25 offset:24
	s_waitcnt vmcnt(0) lgkmcnt(0)
	v_cmp_lt_f32_e32 vcc, v18, v16
	s_and_saveexec_b64 s[10:11], vcc
	s_cbranch_execz .LBB6_4
; %bb.218:                              ;   in Loop: Header=BB6_6 Depth=1
	v_div_scale_f32 v7, s[12:13], v18, v18, v16
	v_div_scale_f32 v8, vcc, v16, v18, v16
	ds_read2_b32 v[32:33], v25 offset0:4 offset1:8
	v_rcp_f32_e32 v12, v7
	v_fma_f32 v13, -v7, v12, 1.0
	v_fmac_f32_e32 v12, v13, v12
	v_mul_f32_e32 v13, v8, v12
	v_fma_f32 v19, -v7, v13, v8
	v_fmac_f32_e32 v13, v19, v12
	v_fma_f32 v7, -v7, v13, v8
	v_div_fmas_f32 v7, v7, v12, v13
	v_div_fixup_f32 v18, v7, v18, v16
	s_and_saveexec_b64 s[12:13], s[4:5]
	s_cbranch_execz .LBB6_220
; %bb.219:                              ;   in Loop: Header=BB6_6 Depth=1
	s_waitcnt lgkmcnt(0)
	v_ashrrev_i32_e32 v8, 31, v33
	v_mov_b32_e32 v7, v33
	v_lshlrev_b64 v[7:8], 2, v[7:8]
	v_add_co_u32_e32 v7, vcc, v20, v7
	v_addc_co_u32_e32 v8, vcc, v4, v8, vcc
	flat_load_dword v12, v[7:8]
	s_waitcnt vmcnt(0) lgkmcnt(0)
	v_mul_f32_e32 v12, v18, v12
	flat_store_dword v[7:8], v12
.LBB6_220:                              ;   in Loop: Header=BB6_6 Depth=1
	s_or_b64 exec, exec, s[12:13]
	s_waitcnt lgkmcnt(0)
	v_add_u32_e32 v34, v32, v0
	v_cmp_lt_i32_e32 vcc, v34, v33
	s_and_b64 exec, exec, vcc
	s_cbranch_execz .LBB6_4
; %bb.221:                              ;   in Loop: Header=BB6_6 Depth=1
	v_ashrrev_i32_e32 v35, 31, v34
	v_lshlrev_b64 v[52:53], 2, v[34:35]
	s_mov_b64 s[12:13], 0
.LBB6_222:                              ;   Parent Loop BB6_6 Depth=1
                                        ; =>  This Inner Loop Header: Depth=2
	v_add_co_u32_e32 v7, vcc, v20, v52
	v_addc_co_u32_e32 v8, vcc, v4, v53, vcc
	flat_load_dword v12, v[7:8]
	v_add_u32_e32 v34, v34, v23
	s_waitcnt vmcnt(0) lgkmcnt(0)
	v_mul_f32_e32 v12, v18, v12
	flat_store_dword v[7:8], v12
	v_add_co_u32_e32 v7, vcc, v5, v52
	v_addc_co_u32_e32 v8, vcc, v6, v53, vcc
	flat_load_dword v12, v[7:8]
	v_add_co_u32_e32 v52, vcc, v52, v28
	v_addc_co_u32_e32 v53, vcc, v53, v29, vcc
	v_cmp_ge_i32_e32 vcc, v34, v33
	s_or_b64 s[12:13], vcc, s[12:13]
	s_waitcnt vmcnt(0) lgkmcnt(0)
	v_mul_f32_e32 v12, v18, v12
	flat_store_dword v[7:8], v12
	s_andn2_b64 exec, exec, s[12:13]
	s_cbranch_execnz .LBB6_222
	s_branch .LBB6_4
.LBB6_223:
	s_or_b64 exec, exec, s[16:17]
; %bb.224:
	v_cmp_lt_i32_e32 vcc, v0, v30
	s_mov_b64 s[8:9], exec
	buffer_load_dword v7, off, s[0:3], s32 offset:176 ; 4-byte Folded Reload
	buffer_load_dword v8, off, s[0:3], s32 offset:180 ; 4-byte Folded Reload
	s_and_b64 s[10:11], s[8:9], vcc
	s_mov_b64 exec, s[10:11]
	s_cbranch_execz .LBB6_229
; %bb.225:
	v_ashrrev_i32_e32 v1, 31, v0
	v_lshlrev_b64 v[10:11], 2, v[0:1]
	v_ashrrev_i32_e32 v24, 31, v23
	v_add_co_u32_e32 v5, vcc, v5, v10
	v_addc_co_u32_e32 v6, vcc, v6, v11, vcc
	v_lshlrev_b64 v[10:11], 2, v[23:24]
	s_mov_b64 s[10:11], 0
	v_mov_b32_e32 v1, 1
	s_branch .LBB6_227
.LBB6_226:                              ;   in Loop: Header=BB6_227 Depth=1
	s_or_b64 exec, exec, s[12:13]
	v_add_u32_e32 v0, v0, v23
	v_cmp_ge_i32_e32 vcc, v0, v30
	s_or_b64 s[10:11], vcc, s[10:11]
	v_add_co_u32_e32 v5, vcc, v5, v10
	v_addc_co_u32_e32 v6, vcc, v6, v11, vcc
	s_andn2_b64 exec, exec, s[10:11]
	s_cbranch_execz .LBB6_229
.LBB6_227:                              ; =>This Inner Loop Header: Depth=1
	flat_load_dword v3, v[5:6]
	s_waitcnt vmcnt(0) lgkmcnt(0)
	v_cmp_neq_f32_e32 vcc, 0, v3
	s_and_saveexec_b64 s[12:13], vcc
	s_cbranch_execz .LBB6_226
; %bb.228:                              ;   in Loop: Header=BB6_227 Depth=1
	flat_atomic_add v[7:8], v1
	s_branch .LBB6_226
.LBB6_229:
	s_or_b64 exec, exec, s[8:9]
	v_cmp_lt_i32_e32 vcc, 1, v2
	s_mov_b32 s18, 1
	s_and_b64 s[8:9], s[6:7], vcc
	s_and_saveexec_b64 s[6:7], s[8:9]
	s_cbranch_execz .LBB6_243
; %bb.230:
	v_add_co_u32_e32 v0, vcc, 4, v20
	v_addc_co_u32_e32 v1, vcc, 0, v4, vcc
	s_mov_b64 s[8:9], 0
	v_mov_b32_e32 v3, 0
	s_branch .LBB6_232
.LBB6_231:                              ;   in Loop: Header=BB6_232 Depth=1
	s_add_i32 s18, s18, 1
	v_cmp_eq_u32_e32 vcc, s18, v2
	s_or_b64 s[8:9], vcc, s[8:9]
	v_add_co_u32_e32 v0, vcc, 4, v0
	v_addc_co_u32_e32 v1, vcc, 0, v1, vcc
	s_waitcnt vmcnt(0) lgkmcnt(0)
	s_barrier
	s_andn2_b64 exec, exec, s[8:9]
	s_cbranch_execz .LBB6_243
.LBB6_232:                              ; =>This Loop Header: Depth=1
                                        ;     Child Loop BB6_235 Depth 2
                                        ;     Child Loop BB6_241 Depth 2
	s_and_saveexec_b64 s[10:11], s[4:5]
	s_cbranch_execz .LBB6_239
; %bb.233:                              ;   in Loop: Header=BB6_232 Depth=1
	s_add_i32 s12, s18, -1
	s_ashr_i32 s13, s12, 31
	s_lshl_b64 s[14:15], s[12:13], 2
	v_mov_b32_e32 v6, s15
	v_add_co_u32_e32 v5, vcc, s14, v20
	v_addc_co_u32_e32 v6, vcc, v4, v6, vcc
	s_waitcnt vmcnt(0)
	flat_load_dword v7, v[5:6]
	v_mov_b32_e32 v13, v1
	s_mov_b64 s[14:15], 0
	v_mov_b32_e32 v12, v0
	v_mov_b32_e32 v10, s12
	;; [unrolled: 1-line block ×3, first 2 shown]
	s_mov_b32 s13, s18
	ds_write_b64 v3, v[10:11]
	s_waitcnt vmcnt(0) lgkmcnt(0)
	ds_write_b32 v3, v7 offset:8
	s_branch .LBB6_235
.LBB6_234:                              ;   in Loop: Header=BB6_235 Depth=2
	s_or_b64 exec, exec, s[16:17]
	s_add_i32 s13, s13, 1
	v_cmp_eq_u32_e32 vcc, s13, v2
	s_or_b64 s[14:15], vcc, s[14:15]
	v_add_co_u32_e32 v12, vcc, 4, v12
	v_addc_co_u32_e32 v13, vcc, 0, v13, vcc
	s_andn2_b64 exec, exec, s[14:15]
	s_cbranch_execz .LBB6_237
.LBB6_235:                              ;   Parent Loop BB6_232 Depth=1
                                        ; =>  This Inner Loop Header: Depth=2
	flat_load_dword v8, v[12:13]
	s_waitcnt vmcnt(0) lgkmcnt(0)
	v_cmp_lt_f32_e32 vcc, v8, v7
	s_and_saveexec_b64 s[16:17], vcc
	s_cbranch_execz .LBB6_234
; %bb.236:                              ;   in Loop: Header=BB6_235 Depth=2
	v_mov_b32_e32 v10, s13
	v_mov_b32_e32 v7, v8
	ds_write2_b32 v3, v10, v8 offset0:1 offset1:2
	s_branch .LBB6_234
.LBB6_237:                              ;   in Loop: Header=BB6_232 Depth=1
	s_or_b64 exec, exec, s[14:15]
	v_cmp_ne_u32_e32 vcc, s12, v10
	s_and_b64 exec, exec, vcc
	s_cbranch_execz .LBB6_239
; %bb.238:                              ;   in Loop: Header=BB6_232 Depth=1
	flat_load_dword v12, v[5:6]
	v_ashrrev_i32_e32 v11, 31, v10
	v_lshlrev_b64 v[7:8], 2, v[10:11]
	v_add_co_u32_e32 v7, vcc, v20, v7
	v_addc_co_u32_e32 v8, vcc, v4, v8, vcc
	s_waitcnt vmcnt(0) lgkmcnt(0)
	flat_store_dword v[7:8], v12
	ds_read_b32 v7, v3 offset:8
	s_waitcnt lgkmcnt(0)
	flat_store_dword v[5:6], v7
.LBB6_239:                              ;   in Loop: Header=BB6_232 Depth=1
	s_or_b64 exec, exec, s[10:11]
	s_waitcnt vmcnt(0) lgkmcnt(0)
	s_barrier
	ds_read_b64 v[5:6], v3
	s_waitcnt lgkmcnt(0)
	v_cmp_eq_u32_e32 vcc, v6, v5
	s_cbranch_vccnz .LBB6_231
; %bb.240:                              ;   in Loop: Header=BB6_232 Depth=1
	buffer_load_dword v13, off, s[0:3], s32 offset:96 ; 4-byte Folded Reload
	buffer_load_dword v12, off, s[0:3], s32 offset:92 ; 4-byte Folded Reload
	v_mul_lo_u32 v6, v6, v9
	v_mul_lo_u32 v10, v5, v9
	s_mov_b64 s[10:11], 0
	v_ashrrev_i32_e32 v7, 31, v6
	v_lshlrev_b64 v[5:6], 2, v[6:7]
	v_ashrrev_i32_e32 v11, 31, v10
	v_lshlrev_b64 v[7:8], 2, v[10:11]
	s_waitcnt vmcnt(1)
	v_add_co_u32_e32 v5, vcc, v13, v5
	s_waitcnt vmcnt(0)
	v_addc_co_u32_e32 v6, vcc, v12, v6, vcc
	v_add_co_u32_e32 v10, vcc, v13, v7
	v_addc_co_u32_e32 v11, vcc, v12, v8, vcc
	v_mov_b32_e32 v7, v2
.LBB6_241:                              ;   Parent Loop BB6_232 Depth=1
                                        ; =>  This Inner Loop Header: Depth=2
	flat_load_dword v8, v[5:6]
	flat_load_dword v12, v[10:11]
	v_add_u32_e32 v7, -1, v7
	v_cmp_eq_u32_e32 vcc, 0, v7
	s_or_b64 s[10:11], vcc, s[10:11]
	s_waitcnt vmcnt(0) lgkmcnt(0)
	flat_store_dword v[10:11], v8
	flat_store_dword v[5:6], v12
	v_add_co_u32_e32 v5, vcc, 4, v5
	v_addc_co_u32_e32 v6, vcc, 0, v6, vcc
	v_add_co_u32_e32 v10, vcc, 4, v10
	v_addc_co_u32_e32 v11, vcc, 0, v11, vcc
	s_andn2_b64 exec, exec, s[10:11]
	s_cbranch_execnz .LBB6_241
; %bb.242:                              ;   in Loop: Header=BB6_232 Depth=1
	s_or_b64 exec, exec, s[10:11]
	s_branch .LBB6_231
.LBB6_243:
	s_or_b64 exec, exec, s[6:7]
	buffer_load_dword v63, off, s[0:3], s32 ; 4-byte Folded Reload
	buffer_load_dword v62, off, s[0:3], s32 offset:4 ; 4-byte Folded Reload
	buffer_load_dword v61, off, s[0:3], s32 offset:8 ; 4-byte Folded Reload
	;; [unrolled: 1-line block ×15, first 2 shown]
	s_waitcnt vmcnt(0) lgkmcnt(0)
	s_setpc_b64 s[30:31]
.Lfunc_end6:
	.size	_ZN9rocsolver6v331009run_steqrIffEEviiiPT0_S3_PT_iPiS3_iS2_S2_S2_b, .Lfunc_end6-_ZN9rocsolver6v331009run_steqrIffEEviiiPT0_S3_PT_iPiS3_iS2_S2_S2_b
                                        ; -- End function
	.set .L_ZN9rocsolver6v331009run_steqrIffEEviiiPT0_S3_PT_iPiS3_iS2_S2_S2_b.num_vgpr, 64
	.set .L_ZN9rocsolver6v331009run_steqrIffEEviiiPT0_S3_PT_iPiS3_iS2_S2_S2_b.num_agpr, 0
	.set .L_ZN9rocsolver6v331009run_steqrIffEEviiiPT0_S3_PT_iPiS3_iS2_S2_S2_b.numbered_sgpr, 63
	.set .L_ZN9rocsolver6v331009run_steqrIffEEviiiPT0_S3_PT_iPiS3_iS2_S2_S2_b.num_named_barrier, 0
	.set .L_ZN9rocsolver6v331009run_steqrIffEEviiiPT0_S3_PT_iPiS3_iS2_S2_S2_b.private_seg_size, 188
	.set .L_ZN9rocsolver6v331009run_steqrIffEEviiiPT0_S3_PT_iPiS3_iS2_S2_S2_b.uses_vcc, 1
	.set .L_ZN9rocsolver6v331009run_steqrIffEEviiiPT0_S3_PT_iPiS3_iS2_S2_S2_b.uses_flat_scratch, 0
	.set .L_ZN9rocsolver6v331009run_steqrIffEEviiiPT0_S3_PT_iPiS3_iS2_S2_S2_b.has_dyn_sized_stack, 0
	.set .L_ZN9rocsolver6v331009run_steqrIffEEviiiPT0_S3_PT_iPiS3_iS2_S2_S2_b.has_recursion, 0
	.set .L_ZN9rocsolver6v331009run_steqrIffEEviiiPT0_S3_PT_iPiS3_iS2_S2_S2_b.has_indirect_call, 0
	.section	.AMDGPU.csdata,"",@progbits
; Function info:
; codeLenInByte = 14152
; TotalNumSgprs: 67
; NumVgprs: 64
; ScratchSize: 188
; MemoryBound: 0
	.section	.text._ZN9rocsolver6v33100L12steqr_kernelIffPfEEviPT0_lS4_lT1_iilPiS4_iS3_S3_S3_,"axG",@progbits,_ZN9rocsolver6v33100L12steqr_kernelIffPfEEviPT0_lS4_lT1_iilPiS4_iS3_S3_S3_,comdat
	.globl	_ZN9rocsolver6v33100L12steqr_kernelIffPfEEviPT0_lS4_lT1_iilPiS4_iS3_S3_S3_ ; -- Begin function _ZN9rocsolver6v33100L12steqr_kernelIffPfEEviPT0_lS4_lT1_iilPiS4_iS3_S3_S3_
	.p2align	8
	.type	_ZN9rocsolver6v33100L12steqr_kernelIffPfEEviPT0_lS4_lT1_iilPiS4_iS3_S3_S3_,@function
_ZN9rocsolver6v33100L12steqr_kernelIffPfEEviPT0_lS4_lT1_iilPiS4_iS3_S3_S3_: ; @_ZN9rocsolver6v33100L12steqr_kernelIffPfEEviPT0_lS4_lT1_iilPiS4_iS3_S3_S3_
; %bb.0:
	s_add_u32 s0, s0, s8
	s_mov_b32 s28, s7
	s_load_dword s33, s[4:5], 0x0
	s_load_dword s7, s[4:5], 0x60
	;; [unrolled: 1-line block ×3, first 2 shown]
	s_load_dwordx8 s[20:27], s[4:5], 0x8
	s_load_dwordx8 s[8:15], s[4:5], 0x28
	s_load_dwordx2 s[30:31], s[4:5], 0x48
	s_load_dwordx4 s[16:19], s[4:5], 0x50
	s_addc_u32 s1, s1, 0
	s_waitcnt lgkmcnt(0)
	s_and_b32 s29, s29, 0xffff
	s_mul_i32 s6, s6, s29
	s_mul_i32 s34, s7, s29
	s_ashr_i32 s29, s28, 31
	v_add_u32_e32 v0, s6, v0
	s_mul_hi_u32 s6, s22, s28
	s_mul_i32 s7, s22, s29
	s_add_i32 s6, s6, s7
	s_mul_i32 s7, s23, s28
	s_add_i32 s7, s6, s7
	s_mul_i32 s6, s22, s28
	s_lshl_b32 s35, s33, 1
	s_lshl_b64 s[6:7], s[6:7], 2
	s_add_u32 s20, s20, s6
	s_addc_u32 s21, s21, s7
	s_mul_hi_u32 s6, s26, s28
	s_mul_i32 s7, s26, s29
	s_add_i32 s6, s6, s7
	s_mul_i32 s7, s27, s28
	s_add_i32 s7, s6, s7
	s_mul_i32 s6, s26, s28
	s_lshl_b64 s[6:7], s[6:7], 2
	s_add_u32 s22, s24, s6
	s_addc_u32 s23, s25, s7
	s_ashr_i32 s7, s10, 31
	s_mov_b32 s6, s10
	s_mul_hi_u32 s10, s12, s28
	s_mul_i32 s24, s12, s29
	s_add_i32 s10, s10, s24
	s_mul_i32 s13, s13, s28
	s_add_i32 s13, s10, s13
	s_mul_i32 s12, s12, s28
	s_lshl_b64 s[12:13], s[12:13], 2
	s_add_u32 s8, s8, s12
	s_addc_u32 s9, s9, s13
	s_lshl_b64 s[6:7], s[6:7], 2
	s_add_u32 s10, s8, s6
	s_addc_u32 s12, s9, s7
	s_mul_hi_i32 s7, s35, s28
	s_mul_i32 s6, s35, s28
	s_lshl_b64 s[6:7], s[6:7], 2
	s_add_u32 s13, s30, s6
	s_addc_u32 s24, s31, s7
	s_lshl_b64 s[6:7], s[28:29], 2
	s_add_u32 s6, s14, s6
	s_addc_u32 s7, s15, s7
	s_add_u32 s8, s4, 0x60
	s_addc_u32 s9, s5, 0
	s_getpc_b64 s[4:5]
	s_add_u32 s4, s4, _ZN9rocsolver6v331009run_steqrIffEEviiiPT0_S3_PT_iPiS3_iS2_S2_S2_b@rel32@lo+4
	s_addc_u32 s5, s5, _ZN9rocsolver6v331009run_steqrIffEEviiiPT0_S3_PT_iPiS3_iS2_S2_S2_b@rel32@hi+12
	v_mov_b32_e32 v1, s34
	v_mov_b32_e32 v2, s33
	;; [unrolled: 1-line block ×18, first 2 shown]
	s_mov_b32 s32, 0
	s_swappc_b64 s[30:31], s[4:5]
	s_endpgm
	.section	.rodata,"a",@progbits
	.p2align	6, 0x0
	.amdhsa_kernel _ZN9rocsolver6v33100L12steqr_kernelIffPfEEviPT0_lS4_lT1_iilPiS4_iS3_S3_S3_
		.amdhsa_group_segment_fixed_size 36
		.amdhsa_private_segment_fixed_size 188
		.amdhsa_kernarg_size 352
		.amdhsa_user_sgpr_count 6
		.amdhsa_user_sgpr_private_segment_buffer 1
		.amdhsa_user_sgpr_dispatch_ptr 0
		.amdhsa_user_sgpr_queue_ptr 0
		.amdhsa_user_sgpr_kernarg_segment_ptr 1
		.amdhsa_user_sgpr_dispatch_id 0
		.amdhsa_user_sgpr_flat_scratch_init 0
		.amdhsa_user_sgpr_private_segment_size 0
		.amdhsa_uses_dynamic_stack 0
		.amdhsa_system_sgpr_private_segment_wavefront_offset 1
		.amdhsa_system_sgpr_workgroup_id_x 1
		.amdhsa_system_sgpr_workgroup_id_y 1
		.amdhsa_system_sgpr_workgroup_id_z 0
		.amdhsa_system_sgpr_workgroup_info 0
		.amdhsa_system_vgpr_workitem_id 0
		.amdhsa_next_free_vgpr 64
		.amdhsa_next_free_sgpr 63
		.amdhsa_reserve_vcc 1
		.amdhsa_reserve_flat_scratch 0
		.amdhsa_float_round_mode_32 0
		.amdhsa_float_round_mode_16_64 0
		.amdhsa_float_denorm_mode_32 3
		.amdhsa_float_denorm_mode_16_64 3
		.amdhsa_dx10_clamp 1
		.amdhsa_ieee_mode 1
		.amdhsa_fp16_overflow 0
		.amdhsa_exception_fp_ieee_invalid_op 0
		.amdhsa_exception_fp_denorm_src 0
		.amdhsa_exception_fp_ieee_div_zero 0
		.amdhsa_exception_fp_ieee_overflow 0
		.amdhsa_exception_fp_ieee_underflow 0
		.amdhsa_exception_fp_ieee_inexact 0
		.amdhsa_exception_int_div_zero 0
	.end_amdhsa_kernel
	.section	.text._ZN9rocsolver6v33100L12steqr_kernelIffPfEEviPT0_lS4_lT1_iilPiS4_iS3_S3_S3_,"axG",@progbits,_ZN9rocsolver6v33100L12steqr_kernelIffPfEEviPT0_lS4_lT1_iilPiS4_iS3_S3_S3_,comdat
.Lfunc_end7:
	.size	_ZN9rocsolver6v33100L12steqr_kernelIffPfEEviPT0_lS4_lT1_iilPiS4_iS3_S3_S3_, .Lfunc_end7-_ZN9rocsolver6v33100L12steqr_kernelIffPfEEviPT0_lS4_lT1_iilPiS4_iS3_S3_S3_
                                        ; -- End function
	.set _ZN9rocsolver6v33100L12steqr_kernelIffPfEEviPT0_lS4_lT1_iilPiS4_iS3_S3_S3_.num_vgpr, max(19, .L_ZN9rocsolver6v331009run_steqrIffEEviiiPT0_S3_PT_iPiS3_iS2_S2_S2_b.num_vgpr)
	.set _ZN9rocsolver6v33100L12steqr_kernelIffPfEEviPT0_lS4_lT1_iilPiS4_iS3_S3_S3_.num_agpr, max(0, .L_ZN9rocsolver6v331009run_steqrIffEEviiiPT0_S3_PT_iPiS3_iS2_S2_S2_b.num_agpr)
	.set _ZN9rocsolver6v33100L12steqr_kernelIffPfEEviPT0_lS4_lT1_iilPiS4_iS3_S3_S3_.numbered_sgpr, max(36, .L_ZN9rocsolver6v331009run_steqrIffEEviiiPT0_S3_PT_iPiS3_iS2_S2_S2_b.numbered_sgpr)
	.set _ZN9rocsolver6v33100L12steqr_kernelIffPfEEviPT0_lS4_lT1_iilPiS4_iS3_S3_S3_.num_named_barrier, max(0, .L_ZN9rocsolver6v331009run_steqrIffEEviiiPT0_S3_PT_iPiS3_iS2_S2_S2_b.num_named_barrier)
	.set _ZN9rocsolver6v33100L12steqr_kernelIffPfEEviPT0_lS4_lT1_iilPiS4_iS3_S3_S3_.private_seg_size, 0+max(.L_ZN9rocsolver6v331009run_steqrIffEEviiiPT0_S3_PT_iPiS3_iS2_S2_S2_b.private_seg_size)
	.set _ZN9rocsolver6v33100L12steqr_kernelIffPfEEviPT0_lS4_lT1_iilPiS4_iS3_S3_S3_.uses_vcc, or(1, .L_ZN9rocsolver6v331009run_steqrIffEEviiiPT0_S3_PT_iPiS3_iS2_S2_S2_b.uses_vcc)
	.set _ZN9rocsolver6v33100L12steqr_kernelIffPfEEviPT0_lS4_lT1_iilPiS4_iS3_S3_S3_.uses_flat_scratch, or(0, .L_ZN9rocsolver6v331009run_steqrIffEEviiiPT0_S3_PT_iPiS3_iS2_S2_S2_b.uses_flat_scratch)
	.set _ZN9rocsolver6v33100L12steqr_kernelIffPfEEviPT0_lS4_lT1_iilPiS4_iS3_S3_S3_.has_dyn_sized_stack, or(0, .L_ZN9rocsolver6v331009run_steqrIffEEviiiPT0_S3_PT_iPiS3_iS2_S2_S2_b.has_dyn_sized_stack)
	.set _ZN9rocsolver6v33100L12steqr_kernelIffPfEEviPT0_lS4_lT1_iilPiS4_iS3_S3_S3_.has_recursion, or(0, .L_ZN9rocsolver6v331009run_steqrIffEEviiiPT0_S3_PT_iPiS3_iS2_S2_S2_b.has_recursion)
	.set _ZN9rocsolver6v33100L12steqr_kernelIffPfEEviPT0_lS4_lT1_iilPiS4_iS3_S3_S3_.has_indirect_call, or(0, .L_ZN9rocsolver6v331009run_steqrIffEEviiiPT0_S3_PT_iPiS3_iS2_S2_S2_b.has_indirect_call)
	.section	.AMDGPU.csdata,"",@progbits
; Kernel info:
; codeLenInByte = 376
; TotalNumSgprs: 67
; NumVgprs: 64
; ScratchSize: 188
; MemoryBound: 0
; FloatMode: 240
; IeeeMode: 1
; LDSByteSize: 36 bytes/workgroup (compile time only)
; SGPRBlocks: 8
; VGPRBlocks: 15
; NumSGPRsForWavesPerEU: 67
; NumVGPRsForWavesPerEU: 64
; Occupancy: 4
; WaveLimiterHint : 0
; COMPUTE_PGM_RSRC2:SCRATCH_EN: 1
; COMPUTE_PGM_RSRC2:USER_SGPR: 6
; COMPUTE_PGM_RSRC2:TRAP_HANDLER: 0
; COMPUTE_PGM_RSRC2:TGID_X_EN: 1
; COMPUTE_PGM_RSRC2:TGID_Y_EN: 1
; COMPUTE_PGM_RSRC2:TGID_Z_EN: 0
; COMPUTE_PGM_RSRC2:TIDIG_COMP_CNT: 0
	.section	.text._ZN9rocsolver6v33100L10init_identIfPfEEviiT0_iil,"axG",@progbits,_ZN9rocsolver6v33100L10init_identIfPfEEviiT0_iil,comdat
	.globl	_ZN9rocsolver6v33100L10init_identIfPfEEviiT0_iil ; -- Begin function _ZN9rocsolver6v33100L10init_identIfPfEEviiT0_iil
	.p2align	8
	.type	_ZN9rocsolver6v33100L10init_identIfPfEEviiT0_iil,@function
_ZN9rocsolver6v33100L10init_identIfPfEEviiT0_iil: ; @_ZN9rocsolver6v33100L10init_identIfPfEEviiT0_iil
; %bb.0:
	s_load_dword s2, s[4:5], 0x2c
	s_load_dwordx2 s[0:1], s[4:5], 0x0
	s_waitcnt lgkmcnt(0)
	s_lshr_b32 s3, s2, 16
	s_and_b32 s2, s2, 0xffff
	s_mul_i32 s6, s6, s2
	s_mul_i32 s7, s7, s3
	v_add_u32_e32 v2, s6, v0
	v_add_u32_e32 v1, s7, v1
	v_cmp_gt_u32_e32 vcc, s0, v2
	v_cmp_gt_u32_e64 s[0:1], s1, v1
	s_and_b64 s[0:1], vcc, s[0:1]
	s_and_saveexec_b64 s[2:3], s[0:1]
	s_cbranch_execz .LBB8_6
; %bb.1:
	s_load_dwordx2 s[0:1], s[4:5], 0x10
	v_cmp_ne_u32_e32 vcc, v2, v1
                                        ; implicit-def: $vgpr0
	s_and_saveexec_b64 s[2:3], vcc
	s_xor_b64 s[2:3], exec, s[2:3]
	s_cbranch_execz .LBB8_3
; %bb.2:
	s_waitcnt lgkmcnt(0)
	v_mad_u64_u32 v[0:1], s[6:7], v1, s1, v[2:3]
                                        ; implicit-def: $vgpr2
.LBB8_3:
	s_or_saveexec_b64 s[2:3], s[2:3]
	v_mov_b32_e32 v1, 0
	v_mov_b32_e32 v3, 0
	s_xor_b64 exec, exec, s[2:3]
	s_cbranch_execz .LBB8_5
; %bb.4:
	s_waitcnt lgkmcnt(0)
	v_mad_u64_u32 v[2:3], s[6:7], v2, s1, v[2:3]
	v_mov_b32_e32 v3, 1.0
	v_mov_b32_e32 v0, v2
.LBB8_5:
	s_or_b64 exec, exec, s[2:3]
	s_load_dwordx2 s[2:3], s[4:5], 0x18
	s_load_dwordx2 s[6:7], s[4:5], 0x8
	s_waitcnt lgkmcnt(0)
	s_ashr_i32 s1, s0, 31
	v_lshlrev_b64 v[0:1], 2, v[0:1]
	s_mul_i32 s3, s3, s8
	s_mul_hi_u32 s4, s2, s8
	s_mul_i32 s2, s2, s8
	s_add_i32 s3, s4, s3
	s_lshl_b64 s[2:3], s[2:3], 2
	s_add_u32 s2, s6, s2
	s_addc_u32 s3, s7, s3
	s_lshl_b64 s[0:1], s[0:1], 2
	s_add_u32 s0, s2, s0
	s_addc_u32 s1, s3, s1
	v_mov_b32_e32 v2, s1
	v_add_co_u32_e32 v0, vcc, s0, v0
	v_addc_co_u32_e32 v1, vcc, v2, v1, vcc
	global_store_dword v[0:1], v3, off
.LBB8_6:
	s_endpgm
	.section	.rodata,"a",@progbits
	.p2align	6, 0x0
	.amdhsa_kernel _ZN9rocsolver6v33100L10init_identIfPfEEviiT0_iil
		.amdhsa_group_segment_fixed_size 0
		.amdhsa_private_segment_fixed_size 0
		.amdhsa_kernarg_size 288
		.amdhsa_user_sgpr_count 6
		.amdhsa_user_sgpr_private_segment_buffer 1
		.amdhsa_user_sgpr_dispatch_ptr 0
		.amdhsa_user_sgpr_queue_ptr 0
		.amdhsa_user_sgpr_kernarg_segment_ptr 1
		.amdhsa_user_sgpr_dispatch_id 0
		.amdhsa_user_sgpr_flat_scratch_init 0
		.amdhsa_user_sgpr_private_segment_size 0
		.amdhsa_uses_dynamic_stack 0
		.amdhsa_system_sgpr_private_segment_wavefront_offset 0
		.amdhsa_system_sgpr_workgroup_id_x 1
		.amdhsa_system_sgpr_workgroup_id_y 1
		.amdhsa_system_sgpr_workgroup_id_z 1
		.amdhsa_system_sgpr_workgroup_info 0
		.amdhsa_system_vgpr_workitem_id 1
		.amdhsa_next_free_vgpr 4
		.amdhsa_next_free_sgpr 9
		.amdhsa_reserve_vcc 1
		.amdhsa_reserve_flat_scratch 0
		.amdhsa_float_round_mode_32 0
		.amdhsa_float_round_mode_16_64 0
		.amdhsa_float_denorm_mode_32 3
		.amdhsa_float_denorm_mode_16_64 3
		.amdhsa_dx10_clamp 1
		.amdhsa_ieee_mode 1
		.amdhsa_fp16_overflow 0
		.amdhsa_exception_fp_ieee_invalid_op 0
		.amdhsa_exception_fp_denorm_src 0
		.amdhsa_exception_fp_ieee_div_zero 0
		.amdhsa_exception_fp_ieee_overflow 0
		.amdhsa_exception_fp_ieee_underflow 0
		.amdhsa_exception_fp_ieee_inexact 0
		.amdhsa_exception_int_div_zero 0
	.end_amdhsa_kernel
	.section	.text._ZN9rocsolver6v33100L10init_identIfPfEEviiT0_iil,"axG",@progbits,_ZN9rocsolver6v33100L10init_identIfPfEEviiT0_iil,comdat
.Lfunc_end8:
	.size	_ZN9rocsolver6v33100L10init_identIfPfEEviiT0_iil, .Lfunc_end8-_ZN9rocsolver6v33100L10init_identIfPfEEviiT0_iil
                                        ; -- End function
	.set _ZN9rocsolver6v33100L10init_identIfPfEEviiT0_iil.num_vgpr, 4
	.set _ZN9rocsolver6v33100L10init_identIfPfEEviiT0_iil.num_agpr, 0
	.set _ZN9rocsolver6v33100L10init_identIfPfEEviiT0_iil.numbered_sgpr, 9
	.set _ZN9rocsolver6v33100L10init_identIfPfEEviiT0_iil.num_named_barrier, 0
	.set _ZN9rocsolver6v33100L10init_identIfPfEEviiT0_iil.private_seg_size, 0
	.set _ZN9rocsolver6v33100L10init_identIfPfEEviiT0_iil.uses_vcc, 1
	.set _ZN9rocsolver6v33100L10init_identIfPfEEviiT0_iil.uses_flat_scratch, 0
	.set _ZN9rocsolver6v33100L10init_identIfPfEEviiT0_iil.has_dyn_sized_stack, 0
	.set _ZN9rocsolver6v33100L10init_identIfPfEEviiT0_iil.has_recursion, 0
	.set _ZN9rocsolver6v33100L10init_identIfPfEEviiT0_iil.has_indirect_call, 0
	.section	.AMDGPU.csdata,"",@progbits
; Kernel info:
; codeLenInByte = 248
; TotalNumSgprs: 13
; NumVgprs: 4
; ScratchSize: 0
; MemoryBound: 0
; FloatMode: 240
; IeeeMode: 1
; LDSByteSize: 0 bytes/workgroup (compile time only)
; SGPRBlocks: 1
; VGPRBlocks: 0
; NumSGPRsForWavesPerEU: 13
; NumVGPRsForWavesPerEU: 4
; Occupancy: 10
; WaveLimiterHint : 0
; COMPUTE_PGM_RSRC2:SCRATCH_EN: 0
; COMPUTE_PGM_RSRC2:USER_SGPR: 6
; COMPUTE_PGM_RSRC2:TRAP_HANDLER: 0
; COMPUTE_PGM_RSRC2:TGID_X_EN: 1
; COMPUTE_PGM_RSRC2:TGID_Y_EN: 1
; COMPUTE_PGM_RSRC2:TGID_Z_EN: 1
; COMPUTE_PGM_RSRC2:TIDIG_COMP_CNT: 1
	.section	.text._ZN9rocsolver6v33100L19stedc_divide_kernelIfEEviiiPT_lS3_liPi,"axG",@progbits,_ZN9rocsolver6v33100L19stedc_divide_kernelIfEEviiiPT_lS3_liPi,comdat
	.globl	_ZN9rocsolver6v33100L19stedc_divide_kernelIfEEviiiPT_lS3_liPi ; -- Begin function _ZN9rocsolver6v33100L19stedc_divide_kernelIfEEviiiPT_lS3_liPi
	.p2align	8
	.type	_ZN9rocsolver6v33100L19stedc_divide_kernelIfEEviiiPT_lS3_liPi,@function
_ZN9rocsolver6v33100L19stedc_divide_kernelIfEEviiiPT_lS3_liPi: ; @_ZN9rocsolver6v33100L19stedc_divide_kernelIfEEviiiPT_lS3_liPi
; %bb.0:
	s_load_dword s0, s[4:5], 0x4c
	s_load_dword s1, s[4:5], 0x30
	s_waitcnt lgkmcnt(0)
	s_and_b32 s0, s0, 0xffff
	s_mul_i32 s6, s6, s0
	v_add_u32_e32 v4, s6, v0
	v_cmp_gt_i32_e32 vcc, s1, v4
	s_and_saveexec_b64 s[0:1], vcc
	s_cbranch_execz .LBB9_10
; %bb.1:
	s_load_dwordx4 s[8:11], s[4:5], 0x0
	s_load_dwordx2 s[2:3], s[4:5], 0x38
	s_waitcnt lgkmcnt(0)
	s_mul_i32 s0, s10, 13
	v_mul_lo_u32 v0, s0, v4
	v_mov_b32_e32 v3, s3
	v_mov_b32_e32 v5, s10
	s_cmp_lt_i32 s8, 1
	v_ashrrev_i32_e32 v1, 31, v0
	v_lshlrev_b64 v[1:2], 2, v[0:1]
	v_add_co_u32_e32 v0, vcc, s2, v1
	v_addc_co_u32_e64 v1, s[0:1], v3, v2, vcc
	global_store_dword v[0:1], v5, off
	s_cbranch_scc1 .LBB9_7
; %bb.2:
	v_mov_b32_e32 v3, s3
	v_addc_co_u32_e32 v2, vcc, v3, v2, vcc
	v_add_co_u32_e32 v5, vcc, -4, v0
	v_addc_co_u32_e32 v6, vcc, -1, v2, vcc
	s_mov_b32 s1, 0
	s_mov_b32 s2, 0
	s_branch .LBB9_4
.LBB9_3:                                ;   in Loop: Header=BB9_4 Depth=1
	s_add_i32 s2, s2, 1
	s_cmp_eq_u32 s2, s8
	s_cbranch_scc1 .LBB9_7
.LBB9_4:                                ; =>This Loop Header: Depth=1
                                        ;     Child Loop BB9_6 Depth 2
	s_cmp_eq_u32 s2, 31
	s_cbranch_scc1 .LBB9_3
; %bb.5:                                ;   in Loop: Header=BB9_4 Depth=1
	s_lshl_b32 s0, 1, s2
	s_lshl_b64 s[6:7], s[0:1], 2
	v_mov_b32_e32 v3, s7
	v_add_co_u32_e32 v2, vcc, s6, v5
	s_add_i32 s3, s0, 1
	v_addc_co_u32_e32 v3, vcc, v6, v3, vcc
	s_lshl_b32 s0, s0, 1
.LBB9_6:                                ;   Parent Loop BB9_4 Depth=1
                                        ; =>  This Inner Loop Header: Depth=2
	global_load_dword v9, v[2:3], off
	v_add_co_u32_e32 v2, vcc, -4, v2
	s_lshl_b64 s[6:7], s[0:1], 2
	v_addc_co_u32_e32 v3, vcc, -1, v3, vcc
	s_add_i32 s3, s3, -1
	s_add_i32 s0, s0, -2
	v_mov_b32_e32 v8, s7
	v_add_co_u32_e32 v7, vcc, s6, v0
	s_cmp_lt_u32 s3, 2
	v_addc_co_u32_e32 v8, vcc, v1, v8, vcc
	s_waitcnt vmcnt(0)
	v_lshrrev_b32_e32 v10, 31, v9
	v_and_b32_e32 v11, 1, v9
	v_add_u32_e32 v9, v9, v10
	v_ashrrev_i32_e32 v9, 1, v9
	v_add_u32_e32 v10, v9, v11
	global_store_dwordx2 v[7:8], v[9:10], off offset:-8
	s_cbranch_scc0 .LBB9_6
	s_branch .LBB9_3
.LBB9_7:
	s_ashr_i32 s11, s10, 31
	s_lshl_b64 s[0:1], s[10:11], 2
	v_mov_b32_e32 v2, s1
	v_add_co_u32_e32 v5, vcc, s0, v0
	v_addc_co_u32_e32 v6, vcc, v1, v2, vcc
	v_mov_b32_e32 v2, 0
	s_cmp_lt_i32 s9, 2
	global_store_dword v[5:6], v2, off
	s_cbranch_scc1 .LBB9_10
; %bb.8:
	s_load_dwordx8 s[12:19], s[4:5], 0x10
	v_ashrrev_i32_e32 v3, 31, v4
	s_waitcnt lgkmcnt(0)
	v_mul_lo_u32 v7, s15, v4
	v_mul_lo_u32 v8, s14, v3
	v_mad_u64_u32 v[5:6], s[2:3], s14, v4, 0
	v_mul_lo_u32 v10, s19, v4
	v_mul_lo_u32 v3, s18, v3
	v_add3_u32 v6, v6, v8, v7
	v_mad_u64_u32 v[7:8], s[2:3], s18, v4, 0
	v_lshlrev_b64 v[5:6], 2, v[5:6]
	v_mov_b32_e32 v9, s13
	v_add_co_u32_e32 v4, vcc, s12, v5
	v_add3_u32 v8, v8, v3, v10
	v_addc_co_u32_e32 v5, vcc, v9, v6, vcc
	v_lshlrev_b64 v[6:7], 2, v[7:8]
	s_add_i32 s2, s9, -1
	s_add_u32 s0, s0, 4
	v_mov_b32_e32 v3, s17
	v_add_co_u32_e32 v6, vcc, s16, v6
	s_addc_u32 s1, s1, 0
	v_addc_co_u32_e32 v7, vcc, v3, v7, vcc
	v_mov_b32_e32 v8, s1
.LBB9_9:                                ; =>This Inner Loop Header: Depth=1
	global_load_dword v3, v[0:1], off
	s_add_i32 s2, s2, -1
	s_cmp_lg_u32 s2, 0
	s_waitcnt vmcnt(0)
	v_add_u32_e32 v2, v3, v2
	v_ashrrev_i32_e32 v3, 31, v2
	v_lshlrev_b64 v[9:10], 2, v[2:3]
	v_add_co_u32_e32 v11, vcc, v6, v9
	v_addc_co_u32_e32 v12, vcc, v7, v10, vcc
	v_add_co_u32_e32 v9, vcc, v4, v9
	v_addc_co_u32_e32 v10, vcc, v5, v10, vcc
	global_load_dword v3, v[11:12], off offset:-4
	global_load_dwordx2 v[13:14], v[9:10], off offset:-4
	v_add_co_u32_e32 v11, vcc, s0, v0
	v_addc_co_u32_e32 v12, vcc, v1, v8, vcc
	v_add_co_u32_e32 v0, vcc, 4, v0
	v_addc_co_u32_e32 v1, vcc, 0, v1, vcc
	global_store_dword v[11:12], v2, off
	s_waitcnt vmcnt(1)
	v_sub_f32_e32 v12, v14, v3
	v_sub_f32_e32 v11, v13, v3
	global_store_dwordx2 v[9:10], v[11:12], off offset:-4
	s_cbranch_scc1 .LBB9_9
.LBB9_10:
	s_endpgm
	.section	.rodata,"a",@progbits
	.p2align	6, 0x0
	.amdhsa_kernel _ZN9rocsolver6v33100L19stedc_divide_kernelIfEEviiiPT_lS3_liPi
		.amdhsa_group_segment_fixed_size 0
		.amdhsa_private_segment_fixed_size 0
		.amdhsa_kernarg_size 320
		.amdhsa_user_sgpr_count 6
		.amdhsa_user_sgpr_private_segment_buffer 1
		.amdhsa_user_sgpr_dispatch_ptr 0
		.amdhsa_user_sgpr_queue_ptr 0
		.amdhsa_user_sgpr_kernarg_segment_ptr 1
		.amdhsa_user_sgpr_dispatch_id 0
		.amdhsa_user_sgpr_flat_scratch_init 0
		.amdhsa_user_sgpr_private_segment_size 0
		.amdhsa_uses_dynamic_stack 0
		.amdhsa_system_sgpr_private_segment_wavefront_offset 0
		.amdhsa_system_sgpr_workgroup_id_x 1
		.amdhsa_system_sgpr_workgroup_id_y 0
		.amdhsa_system_sgpr_workgroup_id_z 0
		.amdhsa_system_sgpr_workgroup_info 0
		.amdhsa_system_vgpr_workitem_id 0
		.amdhsa_next_free_vgpr 15
		.amdhsa_next_free_sgpr 20
		.amdhsa_reserve_vcc 1
		.amdhsa_reserve_flat_scratch 0
		.amdhsa_float_round_mode_32 0
		.amdhsa_float_round_mode_16_64 0
		.amdhsa_float_denorm_mode_32 3
		.amdhsa_float_denorm_mode_16_64 3
		.amdhsa_dx10_clamp 1
		.amdhsa_ieee_mode 1
		.amdhsa_fp16_overflow 0
		.amdhsa_exception_fp_ieee_invalid_op 0
		.amdhsa_exception_fp_denorm_src 0
		.amdhsa_exception_fp_ieee_div_zero 0
		.amdhsa_exception_fp_ieee_overflow 0
		.amdhsa_exception_fp_ieee_underflow 0
		.amdhsa_exception_fp_ieee_inexact 0
		.amdhsa_exception_int_div_zero 0
	.end_amdhsa_kernel
	.section	.text._ZN9rocsolver6v33100L19stedc_divide_kernelIfEEviiiPT_lS3_liPi,"axG",@progbits,_ZN9rocsolver6v33100L19stedc_divide_kernelIfEEviiiPT_lS3_liPi,comdat
.Lfunc_end9:
	.size	_ZN9rocsolver6v33100L19stedc_divide_kernelIfEEviiiPT_lS3_liPi, .Lfunc_end9-_ZN9rocsolver6v33100L19stedc_divide_kernelIfEEviiiPT_lS3_liPi
                                        ; -- End function
	.set _ZN9rocsolver6v33100L19stedc_divide_kernelIfEEviiiPT_lS3_liPi.num_vgpr, 15
	.set _ZN9rocsolver6v33100L19stedc_divide_kernelIfEEviiiPT_lS3_liPi.num_agpr, 0
	.set _ZN9rocsolver6v33100L19stedc_divide_kernelIfEEviiiPT_lS3_liPi.numbered_sgpr, 20
	.set _ZN9rocsolver6v33100L19stedc_divide_kernelIfEEviiiPT_lS3_liPi.num_named_barrier, 0
	.set _ZN9rocsolver6v33100L19stedc_divide_kernelIfEEviiiPT_lS3_liPi.private_seg_size, 0
	.set _ZN9rocsolver6v33100L19stedc_divide_kernelIfEEviiiPT_lS3_liPi.uses_vcc, 1
	.set _ZN9rocsolver6v33100L19stedc_divide_kernelIfEEviiiPT_lS3_liPi.uses_flat_scratch, 0
	.set _ZN9rocsolver6v33100L19stedc_divide_kernelIfEEviiiPT_lS3_liPi.has_dyn_sized_stack, 0
	.set _ZN9rocsolver6v33100L19stedc_divide_kernelIfEEviiiPT_lS3_liPi.has_recursion, 0
	.set _ZN9rocsolver6v33100L19stedc_divide_kernelIfEEviiiPT_lS3_liPi.has_indirect_call, 0
	.section	.AMDGPU.csdata,"",@progbits
; Kernel info:
; codeLenInByte = 584
; TotalNumSgprs: 24
; NumVgprs: 15
; ScratchSize: 0
; MemoryBound: 0
; FloatMode: 240
; IeeeMode: 1
; LDSByteSize: 0 bytes/workgroup (compile time only)
; SGPRBlocks: 2
; VGPRBlocks: 3
; NumSGPRsForWavesPerEU: 24
; NumVGPRsForWavesPerEU: 15
; Occupancy: 10
; WaveLimiterHint : 1
; COMPUTE_PGM_RSRC2:SCRATCH_EN: 0
; COMPUTE_PGM_RSRC2:USER_SGPR: 6
; COMPUTE_PGM_RSRC2:TRAP_HANDLER: 0
; COMPUTE_PGM_RSRC2:TGID_X_EN: 1
; COMPUTE_PGM_RSRC2:TGID_Y_EN: 0
; COMPUTE_PGM_RSRC2:TGID_Z_EN: 0
; COMPUTE_PGM_RSRC2:TIDIG_COMP_CNT: 0
	.section	.text._ZN9rocsolver6v33100L18stedc_solve_kernelIfEEviiPT_lS3_lS3_iilPiS3_S4_S2_S2_S2_,"axG",@progbits,_ZN9rocsolver6v33100L18stedc_solve_kernelIfEEviiPT_lS3_lS3_iilPiS3_S4_S2_S2_S2_,comdat
	.globl	_ZN9rocsolver6v33100L18stedc_solve_kernelIfEEviiPT_lS3_lS3_iilPiS3_S4_S2_S2_S2_ ; -- Begin function _ZN9rocsolver6v33100L18stedc_solve_kernelIfEEviiPT_lS3_lS3_iilPiS3_S4_S2_S2_S2_
	.p2align	8
	.type	_ZN9rocsolver6v33100L18stedc_solve_kernelIfEEviiPT_lS3_lS3_iilPiS3_S4_S2_S2_S2_,@function
_ZN9rocsolver6v33100L18stedc_solve_kernelIfEEviiPT_lS3_lS3_iilPiS3_S4_S2_S2_S2_: ; @_ZN9rocsolver6v33100L18stedc_solve_kernelIfEEviiPT_lS3_lS3_iilPiS3_S4_S2_S2_S2_
; %bb.0:
	s_add_u32 s0, s0, s8
	s_mov_b32 s28, s7
	s_load_dword s30, s[4:5], 0x4
	s_load_dword s7, s[4:5], 0x74
	s_load_dwordx4 s[24:27], s[4:5], 0x28
	s_load_dwordx8 s[16:23], s[4:5], 0x8
	s_load_dwordx8 s[8:15], s[4:5], 0x38
	s_addc_u32 s1, s1, 0
	s_ashr_i32 s29, s28, 31
	s_waitcnt lgkmcnt(0)
	s_and_b32 s33, s7, 0xffff
	s_ashr_i32 s35, s26, 31
	s_mov_b32 s34, s26
	s_mul_hi_u32 s7, s8, s28
	s_mul_i32 s26, s8, s29
	s_add_i32 s7, s7, s26
	s_mul_i32 s9, s9, s28
	s_add_i32 s9, s7, s9
	s_mul_i32 s8, s8, s28
	s_ashr_i32 s31, s30, 31
	s_lshl_b64 s[8:9], s[8:9], 2
	s_add_u32 s7, s24, s8
	s_addc_u32 s24, s25, s9
	s_lshl_b64 s[8:9], s[34:35], 2
	s_add_u32 s25, s7, s8
	s_mul_hi_u32 s7, s18, s28
	s_mul_i32 s8, s18, s29
	s_addc_u32 s24, s24, s9
	s_add_i32 s7, s7, s8
	s_mul_i32 s8, s19, s28
	s_add_i32 s9, s7, s8
	s_mul_i32 s8, s18, s28
	s_lshl_b64 s[8:9], s[8:9], 2
	s_add_u32 s16, s16, s8
	s_mul_hi_u32 s7, s22, s28
	s_mul_i32 s8, s22, s29
	s_addc_u32 s17, s17, s9
	s_add_i32 s7, s7, s8
	s_mul_i32 s8, s23, s28
	s_add_i32 s9, s7, s8
	s_mul_i32 s8, s22, s28
	s_lshl_b64 s[8:9], s[8:9], 2
	s_add_u32 s18, s20, s8
	s_addc_u32 s19, s21, s9
	s_lshl_b64 s[8:9], s[28:29], 2
	s_mul_i32 s7, s28, s30
	s_add_u32 s10, s10, s8
	s_mul_i32 s8, s7, 13
	s_addc_u32 s11, s11, s9
	s_ashr_i32 s9, s8, 31
	s_lshl_b64 s[8:9], s[8:9], 2
	s_add_u32 s14, s14, s8
	s_addc_u32 s15, s15, s9
	s_lshl_b64 s[8:9], s[30:31], 2
	s_add_u32 s20, s14, s8
	s_addc_u32 s21, s15, s9
	s_lshl_b32 s8, s7, 1
	s_ashr_i32 s9, s8, 31
	s_lshl_b64 s[8:9], s[8:9], 2
	s_add_u32 s22, s12, s8
	s_addc_u32 s23, s13, s9
	s_ashr_i32 s7, s6, 31
	s_lshl_b64 s[6:7], s[6:7], 2
	s_add_u32 s8, s14, s6
	s_addc_u32 s9, s15, s7
	v_mov_b32_e32 v1, 0
	s_add_u32 s6, s20, s6
	s_addc_u32 s7, s21, s7
	global_load_dword v2, v1, s[8:9]
	global_load_dword v3, v1, s[6:7]
	v_mov_b32_e32 v12, s17
	v_mov_b32_e32 v13, s19
	s_load_dwordx4 s[12:15], s[4:5], 0x58
	v_mov_b32_e32 v1, s24
	v_mov_b32_e32 v15, s23
	s_add_u32 s8, s4, 0x68
	s_addc_u32 s9, s5, 0
	s_getpc_b64 s[4:5]
	s_add_u32 s4, s4, _ZN9rocsolver6v331009run_steqrIffEEviiiPT0_S3_PT_iPiS3_iS2_S2_S2_b@rel32@lo+4
	s_addc_u32 s5, s5, _ZN9rocsolver6v331009run_steqrIffEEviiiPT0_S3_PT_iPiS3_iS2_S2_S2_b@rel32@hi+12
	s_waitcnt lgkmcnt(0)
	v_mov_b32_e32 v17, s14
	v_mov_b32_e32 v18, 0
	s_mov_b32 s32, 0
	s_waitcnt vmcnt(1)
	v_mul_lo_u32 v14, v2, 30
	s_waitcnt vmcnt(0)
	v_ashrrev_i32_e32 v4, 31, v3
	v_lshlrev_b64 v[8:9], 2, v[3:4]
	v_mul_lo_u32 v7, v3, s27
	v_lshlrev_b32_e32 v5, 1, v3
	v_add_co_u32_e32 v3, vcc, s16, v8
	v_ashrrev_i32_e32 v6, 31, v5
	v_addc_co_u32_e32 v4, vcc, v12, v9, vcc
	v_lshlrev_b64 v[10:11], 2, v[5:6]
	v_add_co_u32_e32 v5, vcc, s18, v8
	v_addc_co_u32_e32 v6, vcc, v13, v9, vcc
	v_add_co_u32_e32 v16, vcc, s25, v8
	v_addc_co_u32_e32 v1, vcc, v1, v9, vcc
	v_ashrrev_i32_e32 v8, 31, v7
	v_add_co_u32_e32 v12, vcc, s22, v10
	v_lshlrev_b64 v[7:8], 2, v[7:8]
	v_addc_co_u32_e32 v13, vcc, v15, v11, vcc
	v_add_co_u32_e32 v7, vcc, v16, v7
	v_addc_co_u32_e32 v8, vcc, v1, v8, vcc
	v_mov_b32_e32 v9, s27
	v_mov_b32_e32 v15, s12
	;; [unrolled: 1-line block ×6, first 2 shown]
	s_swappc_b64 s[30:31], s[4:5]
	s_endpgm
	.section	.rodata,"a",@progbits
	.p2align	6, 0x0
	.amdhsa_kernel _ZN9rocsolver6v33100L18stedc_solve_kernelIfEEviiPT_lS3_lS3_iilPiS3_S4_S2_S2_S2_
		.amdhsa_group_segment_fixed_size 36
		.amdhsa_private_segment_fixed_size 188
		.amdhsa_kernarg_size 360
		.amdhsa_user_sgpr_count 6
		.amdhsa_user_sgpr_private_segment_buffer 1
		.amdhsa_user_sgpr_dispatch_ptr 0
		.amdhsa_user_sgpr_queue_ptr 0
		.amdhsa_user_sgpr_kernarg_segment_ptr 1
		.amdhsa_user_sgpr_dispatch_id 0
		.amdhsa_user_sgpr_flat_scratch_init 0
		.amdhsa_user_sgpr_private_segment_size 0
		.amdhsa_uses_dynamic_stack 0
		.amdhsa_system_sgpr_private_segment_wavefront_offset 1
		.amdhsa_system_sgpr_workgroup_id_x 1
		.amdhsa_system_sgpr_workgroup_id_y 1
		.amdhsa_system_sgpr_workgroup_id_z 0
		.amdhsa_system_sgpr_workgroup_info 0
		.amdhsa_system_vgpr_workitem_id 0
		.amdhsa_next_free_vgpr 64
		.amdhsa_next_free_sgpr 63
		.amdhsa_reserve_vcc 1
		.amdhsa_reserve_flat_scratch 0
		.amdhsa_float_round_mode_32 0
		.amdhsa_float_round_mode_16_64 0
		.amdhsa_float_denorm_mode_32 3
		.amdhsa_float_denorm_mode_16_64 3
		.amdhsa_dx10_clamp 1
		.amdhsa_ieee_mode 1
		.amdhsa_fp16_overflow 0
		.amdhsa_exception_fp_ieee_invalid_op 0
		.amdhsa_exception_fp_denorm_src 0
		.amdhsa_exception_fp_ieee_div_zero 0
		.amdhsa_exception_fp_ieee_overflow 0
		.amdhsa_exception_fp_ieee_underflow 0
		.amdhsa_exception_fp_ieee_inexact 0
		.amdhsa_exception_int_div_zero 0
	.end_amdhsa_kernel
	.section	.text._ZN9rocsolver6v33100L18stedc_solve_kernelIfEEviiPT_lS3_lS3_iilPiS3_S4_S2_S2_S2_,"axG",@progbits,_ZN9rocsolver6v33100L18stedc_solve_kernelIfEEviiPT_lS3_lS3_iilPiS3_S4_S2_S2_S2_,comdat
.Lfunc_end10:
	.size	_ZN9rocsolver6v33100L18stedc_solve_kernelIfEEviiPT_lS3_lS3_iilPiS3_S4_S2_S2_S2_, .Lfunc_end10-_ZN9rocsolver6v33100L18stedc_solve_kernelIfEEviiPT_lS3_lS3_iilPiS3_S4_S2_S2_S2_
                                        ; -- End function
	.set _ZN9rocsolver6v33100L18stedc_solve_kernelIfEEviiPT_lS3_lS3_iilPiS3_S4_S2_S2_S2_.num_vgpr, max(19, .L_ZN9rocsolver6v331009run_steqrIffEEviiiPT0_S3_PT_iPiS3_iS2_S2_S2_b.num_vgpr)
	.set _ZN9rocsolver6v33100L18stedc_solve_kernelIfEEviiPT_lS3_lS3_iilPiS3_S4_S2_S2_S2_.num_agpr, max(0, .L_ZN9rocsolver6v331009run_steqrIffEEviiiPT0_S3_PT_iPiS3_iS2_S2_S2_b.num_agpr)
	.set _ZN9rocsolver6v33100L18stedc_solve_kernelIfEEviiPT_lS3_lS3_iilPiS3_S4_S2_S2_S2_.numbered_sgpr, max(36, .L_ZN9rocsolver6v331009run_steqrIffEEviiiPT0_S3_PT_iPiS3_iS2_S2_S2_b.numbered_sgpr)
	.set _ZN9rocsolver6v33100L18stedc_solve_kernelIfEEviiPT_lS3_lS3_iilPiS3_S4_S2_S2_S2_.num_named_barrier, max(0, .L_ZN9rocsolver6v331009run_steqrIffEEviiiPT0_S3_PT_iPiS3_iS2_S2_S2_b.num_named_barrier)
	.set _ZN9rocsolver6v33100L18stedc_solve_kernelIfEEviiPT_lS3_lS3_iilPiS3_S4_S2_S2_S2_.private_seg_size, 0+max(.L_ZN9rocsolver6v331009run_steqrIffEEviiiPT0_S3_PT_iPiS3_iS2_S2_S2_b.private_seg_size)
	.set _ZN9rocsolver6v33100L18stedc_solve_kernelIfEEviiPT_lS3_lS3_iilPiS3_S4_S2_S2_S2_.uses_vcc, or(1, .L_ZN9rocsolver6v331009run_steqrIffEEviiiPT0_S3_PT_iPiS3_iS2_S2_S2_b.uses_vcc)
	.set _ZN9rocsolver6v33100L18stedc_solve_kernelIfEEviiPT_lS3_lS3_iilPiS3_S4_S2_S2_S2_.uses_flat_scratch, or(0, .L_ZN9rocsolver6v331009run_steqrIffEEviiiPT0_S3_PT_iPiS3_iS2_S2_S2_b.uses_flat_scratch)
	.set _ZN9rocsolver6v33100L18stedc_solve_kernelIfEEviiPT_lS3_lS3_iilPiS3_S4_S2_S2_S2_.has_dyn_sized_stack, or(0, .L_ZN9rocsolver6v331009run_steqrIffEEviiiPT0_S3_PT_iPiS3_iS2_S2_S2_b.has_dyn_sized_stack)
	.set _ZN9rocsolver6v33100L18stedc_solve_kernelIfEEviiPT_lS3_lS3_iilPiS3_S4_S2_S2_S2_.has_recursion, or(0, .L_ZN9rocsolver6v331009run_steqrIffEEviiiPT0_S3_PT_iPiS3_iS2_S2_S2_b.has_recursion)
	.set _ZN9rocsolver6v33100L18stedc_solve_kernelIfEEviiPT_lS3_lS3_iilPiS3_S4_S2_S2_S2_.has_indirect_call, or(0, .L_ZN9rocsolver6v331009run_steqrIffEEviiiPT0_S3_PT_iPiS3_iS2_S2_S2_b.has_indirect_call)
	.section	.AMDGPU.csdata,"",@progbits
; Kernel info:
; codeLenInByte = 520
; TotalNumSgprs: 67
; NumVgprs: 64
; ScratchSize: 188
; MemoryBound: 0
; FloatMode: 240
; IeeeMode: 1
; LDSByteSize: 36 bytes/workgroup (compile time only)
; SGPRBlocks: 8
; VGPRBlocks: 15
; NumSGPRsForWavesPerEU: 67
; NumVGPRsForWavesPerEU: 64
; Occupancy: 4
; WaveLimiterHint : 0
; COMPUTE_PGM_RSRC2:SCRATCH_EN: 1
; COMPUTE_PGM_RSRC2:USER_SGPR: 6
; COMPUTE_PGM_RSRC2:TRAP_HANDLER: 0
; COMPUTE_PGM_RSRC2:TGID_X_EN: 1
; COMPUTE_PGM_RSRC2:TGID_Y_EN: 1
; COMPUTE_PGM_RSRC2:TGID_Z_EN: 0
; COMPUTE_PGM_RSRC2:TIDIG_COMP_CNT: 0
	.section	.text._ZN9rocsolver6v33100L37stedc_mergePrepare_DeflateZero_kernelIfEEviiPT_lS3_lS3_iilS3_PiS2_,"axG",@progbits,_ZN9rocsolver6v33100L37stedc_mergePrepare_DeflateZero_kernelIfEEviiPT_lS3_lS3_iilS3_PiS2_,comdat
	.globl	_ZN9rocsolver6v33100L37stedc_mergePrepare_DeflateZero_kernelIfEEviiPT_lS3_lS3_iilS3_PiS2_ ; -- Begin function _ZN9rocsolver6v33100L37stedc_mergePrepare_DeflateZero_kernelIfEEviiPT_lS3_lS3_iilS3_PiS2_
	.p2align	8
	.type	_ZN9rocsolver6v33100L37stedc_mergePrepare_DeflateZero_kernelIfEEviiPT_lS3_lS3_iilS3_PiS2_,@function
_ZN9rocsolver6v33100L37stedc_mergePrepare_DeflateZero_kernelIfEEviiPT_lS3_lS3_iilS3_PiS2_: ; @_ZN9rocsolver6v33100L37stedc_mergePrepare_DeflateZero_kernelIfEEviiPT_lS3_lS3_iilS3_PiS2_
; %bb.0:
	s_load_dword s20, s[4:5], 0x4
	s_load_dwordx8 s[8:15], s[4:5], 0x8
	s_load_dwordx4 s[16:19], s[4:5], 0x38
	s_ashr_i32 s36, s7, 31
	s_load_dwordx2 s[0:1], s[4:5], 0x48
	s_waitcnt lgkmcnt(0)
	s_ashr_i32 s21, s20, 31
	s_mul_hi_u32 s2, s14, s7
	s_mul_i32 s3, s14, s36
	s_add_i32 s2, s2, s3
	s_mul_i32 s3, s15, s7
	s_add_i32 s3, s2, s3
	s_mul_i32 s2, s14, s7
	s_lshl_b64 s[2:3], s[2:3], 2
	s_add_u32 s22, s12, s2
	s_mul_i32 s12, s20, s7
	s_mul_i32 s2, s12, 13
	s_addc_u32 s23, s13, s3
	s_ashr_i32 s3, s2, 31
	s_lshl_b64 s[2:3], s[2:3], 2
	s_add_u32 s2, s0, s2
	s_addc_u32 s3, s1, s3
	s_lshl_b32 s0, s20, 3
	s_ashr_i32 s1, s0, 31
	s_lshl_b64 s[0:1], s[0:1], 2
	s_add_u32 s30, s2, s0
	s_addc_u32 s31, s3, s1
	s_mul_i32 s1, s20, 0xffffffe8
	s_mul_hi_i32 s0, s20, 0xffffffe8
	s_add_u32 s2, s30, s1
	s_addc_u32 s3, s31, s0
	s_lshl_b64 s[14:15], s[20:21], 2
	s_add_u32 s13, s2, s14
	s_mul_i32 s0, s12, 10
	s_addc_u32 s24, s3, s15
	s_ashr_i32 s1, s0, 31
	s_lshl_b64 s[0:1], s[0:1], 2
	s_add_u32 s21, s18, s0
	s_mul_i32 s0, s20, 9
	s_addc_u32 s33, s19, s1
	s_ashr_i32 s1, s0, 31
	s_lshl_b64 s[0:1], s[0:1], 2
	s_add_u32 s34, s21, s0
	s_addc_u32 s35, s33, s1
	s_lshl_b32 s0, s6, 1
	s_ashr_i32 s1, s0, 31
	s_lshl_b64 s[0:1], s[0:1], 2
	s_add_u32 s2, s2, s0
	s_addc_u32 s3, s3, s1
	s_add_u32 s0, s13, s0
	s_addc_u32 s1, s24, s1
	s_load_dwordx2 s[12:13], s[0:1], 0x0
	s_waitcnt lgkmcnt(0)
	s_ashr_i32 s19, s13, 31
	s_mov_b32 s18, s13
	s_lshl_b64 s[0:1], s[18:19], 2
	s_add_u32 s0, s22, s0
	s_addc_u32 s1, s23, s1
	s_add_u32 s0, s0, -4
	s_addc_u32 s1, s1, -1
	s_load_dword s6, s[0:1], 0x0
	s_load_dwordx2 s[22:23], s[2:3], 0x0
	s_load_dwordx2 s[26:27], s[4:5], 0x28
	s_waitcnt lgkmcnt(0)
	v_add_f32_e64 v3, s6, s6
	s_add_i32 s13, s23, s22
	v_cmp_le_i32_e64 s[2:3], s13, v0
	v_cmp_gt_i32_e64 s[0:1], s13, v0
	s_and_saveexec_b64 s[24:25], s[0:1]
	s_cbranch_execz .LBB11_3
; %bb.1:
	s_load_dword s6, s[4:5], 0x64
	s_mov_b64 s[28:29], 0
	v_mov_b32_e32 v1, s35
	v_mov_b32_e32 v2, v0
	s_waitcnt lgkmcnt(0)
	s_and_b32 s6, s6, 0xffff
.LBB11_2:                               ; =>This Inner Loop Header: Depth=1
	v_add_u32_e32 v4, s12, v2
	v_ashrrev_i32_e32 v5, 31, v4
	v_add_u32_e32 v2, s6, v2
	v_lshlrev_b64 v[4:5], 2, v[4:5]
	v_cmp_le_i32_e32 vcc, s13, v2
	s_or_b64 s[28:29], vcc, s[28:29]
	v_add_co_u32_e32 v4, vcc, s34, v4
	v_addc_co_u32_e32 v5, vcc, v1, v5, vcc
	global_store_dword v[4:5], v3, off
	s_andn2_b64 exec, exec, s[28:29]
	s_cbranch_execnz .LBB11_2
.LBB11_3:
	s_or_b64 exec, exec, s[24:25]
	s_load_dwordx2 s[24:25], s[4:5], 0x30
	s_mul_i32 s6, s16, s36
	s_mul_hi_u32 s28, s16, s7
	s_add_i32 s6, s28, s6
	s_mul_i32 s17, s17, s7
	s_add_i32 s17, s6, s17
	s_mul_i32 s16, s16, s7
	s_waitcnt lgkmcnt(0)
	s_ashr_i32 s29, s24, 31
	s_lshl_b64 s[16:17], s[16:17], 2
	s_mov_b32 s28, s24
	s_add_u32 s6, s26, s16
	s_addc_u32 s24, s27, s17
	s_lshl_b64 s[16:17], s[28:29], 2
	s_add_u32 s6, s6, s16
	s_addc_u32 s37, s24, s17
	v_cmp_gt_i32_e32 vcc, s22, v0
	v_mov_b32_e32 v4, 0
	s_and_saveexec_b64 s[16:17], vcc
	s_cbranch_execz .LBB11_7
; %bb.4:
	s_load_dword s24, s[4:5], 0x64
	v_add_u32_e32 v1, s12, v0
	v_mul_lo_u32 v1, s25, v1
	s_mov_b32 s28, 0x667f3bcd
	v_mov_b32_e32 v4, 0
	s_waitcnt lgkmcnt(0)
	s_and_b32 s24, s24, 0xffff
	s_mov_b64 s[26:27], 0
	s_mul_i32 s38, s25, s24
	v_mov_b32_e32 v2, s19
	v_mov_b32_e32 v5, s37
	s_mov_b32 s29, 0x3ff6a09e
	v_mov_b32_e32 v6, s33
	v_mov_b32_e32 v7, v0
.LBB11_5:                               ; =>This Inner Loop Header: Depth=1
	v_ashrrev_i32_e32 v9, 31, v1
	v_add_co_u32_e32 v8, vcc, s18, v1
	v_addc_co_u32_e32 v9, vcc, v9, v2, vcc
	v_lshlrev_b64 v[8:9], 2, v[8:9]
	v_add_u32_e32 v1, s38, v1
	v_add_co_u32_e32 v8, vcc, s6, v8
	v_addc_co_u32_e32 v9, vcc, v5, v9, vcc
	global_load_dword v8, v[8:9], off offset:-4
	s_waitcnt vmcnt(0)
	v_cvt_f64_f32_e32 v[8:9], v8
	v_div_scale_f64 v[10:11], s[40:41], s[28:29], s[28:29], v[8:9]
	v_rcp_f64_e32 v[12:13], v[10:11]
	v_fma_f64 v[14:15], -v[10:11], v[12:13], 1.0
	v_fma_f64 v[12:13], v[12:13], v[14:15], v[12:13]
	v_div_scale_f64 v[14:15], vcc, v[8:9], s[28:29], v[8:9]
	v_fma_f64 v[16:17], -v[10:11], v[12:13], 1.0
	v_fma_f64 v[12:13], v[12:13], v[16:17], v[12:13]
	v_mul_f64 v[16:17], v[14:15], v[12:13]
	v_fma_f64 v[10:11], -v[10:11], v[16:17], v[14:15]
	v_div_fmas_f64 v[10:11], v[10:11], v[12:13], v[16:17]
	v_add_u32_e32 v12, s12, v7
	v_ashrrev_i32_e32 v13, 31, v12
	v_add_u32_e32 v7, s24, v7
	v_cmp_le_i32_e32 vcc, s22, v7
	s_or_b64 s[26:27], vcc, s[26:27]
	v_div_fixup_f64 v[8:9], v[10:11], s[28:29], v[8:9]
	v_lshlrev_b64 v[10:11], 2, v[12:13]
	v_add_co_u32_e32 v10, vcc, s21, v10
	v_addc_co_u32_e32 v11, vcc, v6, v11, vcc
	v_cvt_f32_f64_e32 v8, v[8:9]
	v_cmp_lt_f32_e64 s[40:41], v4, |v8|
	v_cndmask_b32_e64 v4, v4, |v8|, s[40:41]
	global_store_dword v[10:11], v8, off
	s_andn2_b64 exec, exec, s[26:27]
	s_cbranch_execnz .LBB11_5
; %bb.6:
	s_or_b64 exec, exec, s[26:27]
.LBB11_7:
	s_or_b64 exec, exec, s[16:17]
	v_cmp_le_i32_e32 vcc, s23, v0
                                        ; implicit-def: $sgpr26_sgpr27
	s_and_saveexec_b64 s[16:17], vcc
	s_xor_b64 s[16:17], exec, s[16:17]
; %bb.8:
	s_add_u32 s26, s4, 0x58
	s_addc_u32 s27, s5, 0
; %bb.9:
	s_or_saveexec_b64 s[16:17], s[16:17]
	v_mov_b32_e32 v1, s26
	v_mov_b32_e32 v2, s27
	s_xor_b64 exec, exec, s[16:17]
	s_cbranch_execz .LBB11_13
; %bb.10:
	s_load_dword s19, s[4:5], 0x64
	v_add_u32_e32 v1, s18, v0
	v_mul_lo_u32 v1, s25, v1
	s_add_u32 s26, s4, 0x58
	s_addc_u32 s27, s5, 0
	s_waitcnt lgkmcnt(0)
	s_and_b32 s19, s19, 0xffff
	s_mov_b32 s28, 0x667f3bcd
	s_mul_i32 s22, s25, s19
	s_mov_b64 s[24:25], 0
	v_mov_b32_e32 v2, s37
	s_mov_b32 s29, 0x3ff6a09e
	v_mov_b32_e32 v5, s33
	v_mov_b32_e32 v6, v0
.LBB11_11:                              ; =>This Inner Loop Header: Depth=1
	v_add_u32_e32 v7, s18, v1
	v_ashrrev_i32_e32 v8, 31, v7
	v_lshlrev_b64 v[7:8], 2, v[7:8]
	v_add_u32_e32 v1, s22, v1
	v_add_co_u32_e32 v7, vcc, s6, v7
	v_addc_co_u32_e32 v8, vcc, v2, v8, vcc
	global_load_dword v7, v[7:8], off
	s_waitcnt vmcnt(0)
	v_cvt_f64_f32_e32 v[7:8], v7
	v_div_scale_f64 v[9:10], s[38:39], s[28:29], s[28:29], v[7:8]
	v_rcp_f64_e32 v[11:12], v[9:10]
	v_fma_f64 v[13:14], -v[9:10], v[11:12], 1.0
	v_fma_f64 v[11:12], v[11:12], v[13:14], v[11:12]
	v_div_scale_f64 v[13:14], vcc, v[7:8], s[28:29], v[7:8]
	v_fma_f64 v[15:16], -v[9:10], v[11:12], 1.0
	v_fma_f64 v[11:12], v[11:12], v[15:16], v[11:12]
	v_mul_f64 v[15:16], v[13:14], v[11:12]
	v_fma_f64 v[9:10], -v[9:10], v[15:16], v[13:14]
	v_div_fmas_f64 v[9:10], v[9:10], v[11:12], v[15:16]
	v_add_u32_e32 v11, s18, v6
	v_ashrrev_i32_e32 v12, 31, v11
	v_add_u32_e32 v6, s19, v6
	v_cmp_le_i32_e32 vcc, s23, v6
	s_or_b64 s[24:25], vcc, s[24:25]
	v_div_fixup_f64 v[7:8], v[9:10], s[28:29], v[7:8]
	v_lshlrev_b64 v[9:10], 2, v[11:12]
	v_add_co_u32_e32 v9, vcc, s21, v9
	v_addc_co_u32_e32 v10, vcc, v5, v10, vcc
	v_cvt_f32_f64_e32 v7, v[7:8]
	v_cmp_lt_f32_e64 s[38:39], v4, |v7|
	v_cndmask_b32_e64 v4, v4, |v7|, s[38:39]
	global_store_dword v[9:10], v7, off
	s_andn2_b64 exec, exec, s[24:25]
	s_cbranch_execnz .LBB11_11
; %bb.12:
	s_or_b64 exec, exec, s[24:25]
	v_mov_b32_e32 v1, s26
	v_mov_b32_e32 v2, s27
.LBB11_13:
	s_or_b64 exec, exec, s[16:17]
                                        ; implicit-def: $vgpr7
                                        ; implicit-def: $vgpr5
	s_and_saveexec_b64 s[16:17], s[2:3]
	s_xor_b64 s[2:3], exec, s[16:17]
	s_cbranch_execz .LBB11_15
; %bb.14:
	global_load_ushort v7, v[1:2], off offset:12
                                        ; implicit-def: $vgpr1_vgpr2
	s_waitcnt vmcnt(0)
	v_and_b32_e32 v5, 0xffff, v7
	s_or_saveexec_b64 s[2:3], s[2:3]
	v_mov_b32_e32 v6, 0
	s_xor_b64 exec, exec, s[2:3]
	s_cbranch_execz .LBB11_19
	s_branch .LBB11_16
.LBB11_15:
	s_or_saveexec_b64 s[2:3], s[2:3]
	v_mov_b32_e32 v6, 0
	s_xor_b64 exec, exec, s[2:3]
	s_cbranch_execz .LBB11_19
.LBB11_16:
	global_load_ushort v7, v[1:2], off offset:12
	s_mul_i32 s16, s10, s36
	s_mul_hi_u32 s17, s10, s7
	s_mul_i32 s11, s11, s7
	s_add_i32 s16, s17, s16
	s_mul_i32 s10, s10, s7
	s_add_i32 s11, s16, s11
	s_lshl_b64 s[10:11], s[10:11], 2
	s_add_u32 s8, s8, s10
	s_addc_u32 s9, s9, s11
	v_mov_b32_e32 v6, 0
	s_mov_b64 s[6:7], 0
	v_mov_b32_e32 v1, s9
	v_mov_b32_e32 v2, v0
	s_waitcnt vmcnt(0)
	v_and_b32_e32 v5, 0xffff, v7
.LBB11_17:                              ; =>This Inner Loop Header: Depth=1
	v_add_u32_e32 v8, s12, v2
	v_ashrrev_i32_e32 v9, 31, v8
	v_lshlrev_b64 v[8:9], 2, v[8:9]
	v_add_u32_e32 v2, v2, v5
	v_add_co_u32_e32 v8, vcc, s8, v8
	v_addc_co_u32_e32 v9, vcc, v1, v9, vcc
	global_load_dword v8, v[8:9], off
	v_cmp_le_i32_e32 vcc, s13, v2
	s_or_b64 s[6:7], vcc, s[6:7]
	s_waitcnt vmcnt(0)
	v_cmp_lt_f32_e64 s[10:11], v6, |v8|
	v_cndmask_b32_e64 v6, v6, |v8|, s[10:11]
	s_andn2_b64 exec, exec, s[6:7]
	s_cbranch_execnz .LBB11_17
; %bb.18:
	s_or_b64 exec, exec, s[6:7]
.LBB11_19:
	s_or_b64 exec, exec, s[2:3]
	v_lshlrev_b32_e32 v1, 2, v0
	v_cmp_lt_u16_e32 vcc, 1, v7
	ds_write2st64_b32 v1, v6, v4 offset1:8
	s_waitcnt vmcnt(0) lgkmcnt(0)
	s_barrier
	s_and_saveexec_b64 s[2:3], vcc
	s_cbranch_execz .LBB11_24
; %bb.20:
	v_or_b32_e32 v2, 0x800, v1
	s_mov_b64 s[6:7], 0
	v_mov_b32_e32 v7, v5
	s_branch .LBB11_22
.LBB11_21:                              ;   in Loop: Header=BB11_22 Depth=1
	s_or_b64 exec, exec, s[8:9]
	v_cmp_gt_u32_e32 vcc, 4, v7
	s_or_b64 s[6:7], vcc, s[6:7]
	v_mov_b32_e32 v7, v8
	s_waitcnt lgkmcnt(0)
	s_barrier
	s_andn2_b64 exec, exec, s[6:7]
	s_cbranch_execz .LBB11_24
.LBB11_22:                              ; =>This Inner Loop Header: Depth=1
	v_lshrrev_b32_e32 v8, 1, v7
	v_cmp_lt_u32_e32 vcc, v0, v8
	s_and_saveexec_b64 s[8:9], vcc
	s_cbranch_execz .LBB11_21
; %bb.23:                               ;   in Loop: Header=BB11_22 Depth=1
	v_lshlrev_b32_e32 v9, 2, v8
	v_add_u32_e32 v10, v1, v9
	ds_read_b32 v10, v10
	v_add_u32_e32 v9, v2, v9
	ds_read_b32 v9, v9
	s_waitcnt lgkmcnt(1)
	v_cmp_lt_f32_e32 vcc, v6, v10
	v_cndmask_b32_e32 v6, v6, v10, vcc
	s_waitcnt lgkmcnt(0)
	v_cmp_lt_f32_e32 vcc, v4, v9
	v_cndmask_b32_e32 v4, v4, v9, vcc
	ds_write_b32 v1, v6
	ds_write_b32 v2, v4
	s_branch .LBB11_21
.LBB11_24:
	s_or_b64 exec, exec, s[2:3]
	s_and_saveexec_b64 s[2:3], s[0:1]
	s_cbranch_execz .LBB11_29
; %bb.25:
	s_load_dword s0, s[4:5], 0x50
	v_mov_b32_e32 v1, 0
	ds_read2st64_b32 v[1:2], v1 offset1:8
	v_mov_b32_e32 v4, 0x41000000
	s_mul_i32 s1, s20, 0xffffffec
	s_waitcnt lgkmcnt(0)
	v_mul_f32_e32 v4, s0, v4
	s_mul_hi_i32 s0, s20, 0xffffffec
	s_add_u32 s2, s34, s1
	s_addc_u32 s4, s35, s0
	v_cmp_lt_f32_e32 vcc, v1, v2
	s_add_u32 s3, s2, s14
	v_cndmask_b32_e32 v1, v1, v2, vcc
	s_addc_u32 s5, s4, s15
	v_mul_f32_e32 v1, v4, v1
	s_mov_b64 s[0:1], 0
	v_mov_b32_e32 v2, s4
	v_mov_b32_e32 v4, s5
	;; [unrolled: 1-line block ×3, first 2 shown]
.LBB11_26:                              ; =>This Inner Loop Header: Depth=1
	v_add_u32_e32 v7, s12, v6
	v_ashrrev_i32_e32 v8, 31, v7
	v_add_u32_e32 v6, v6, v5
	v_lshlrev_b64 v[7:8], 2, v[7:8]
	v_cmp_le_i32_e32 vcc, s13, v6
	s_or_b64 s[0:1], vcc, s[0:1]
	v_add_co_u32_e32 v9, vcc, s2, v7
	v_addc_co_u32_e32 v10, vcc, v2, v8, vcc
	v_add_co_u32_e32 v7, vcc, s3, v7
	v_addc_co_u32_e32 v8, vcc, v4, v8, vcc
	global_store_dword v[9:10], v1, off
	global_store_dword v[7:8], v1, off
	s_andn2_b64 exec, exec, s[0:1]
	s_cbranch_execnz .LBB11_26
; %bb.27:
	s_or_b64 exec, exec, s[0:1]
	s_mov_b64 s[0:1], 0
	v_mov_b32_e32 v2, s33
	v_mov_b32_e32 v4, s31
.LBB11_28:                              ; =>This Inner Loop Header: Depth=1
	v_add_u32_e32 v6, s12, v0
	v_ashrrev_i32_e32 v7, 31, v6
	v_lshlrev_b64 v[6:7], 2, v[6:7]
	v_add_u32_e32 v0, v0, v5
	v_add_co_u32_e32 v8, vcc, s21, v6
	v_addc_co_u32_e32 v9, vcc, v2, v7, vcc
	global_load_dword v8, v[8:9], off
	v_cmp_le_i32_e32 vcc, s13, v0
	s_or_b64 s[0:1], vcc, s[0:1]
	v_add_co_u32_e32 v6, vcc, s30, v6
	v_addc_co_u32_e32 v7, vcc, v4, v7, vcc
	s_waitcnt vmcnt(0)
	v_mul_f32_e32 v8, v3, v8
	v_cmp_nle_f32_e64 s[2:3], |v8|, v1
	v_cndmask_b32_e64 v8, 0, 1, s[2:3]
	global_store_dword v[6:7], v8, off
	s_andn2_b64 exec, exec, s[0:1]
	s_cbranch_execnz .LBB11_28
.LBB11_29:
	s_endpgm
	.section	.rodata,"a",@progbits
	.p2align	6, 0x0
	.amdhsa_kernel _ZN9rocsolver6v33100L37stedc_mergePrepare_DeflateZero_kernelIfEEviiPT_lS3_lS3_iilS3_PiS2_
		.amdhsa_group_segment_fixed_size 4096
		.amdhsa_private_segment_fixed_size 0
		.amdhsa_kernarg_size 344
		.amdhsa_user_sgpr_count 6
		.amdhsa_user_sgpr_private_segment_buffer 1
		.amdhsa_user_sgpr_dispatch_ptr 0
		.amdhsa_user_sgpr_queue_ptr 0
		.amdhsa_user_sgpr_kernarg_segment_ptr 1
		.amdhsa_user_sgpr_dispatch_id 0
		.amdhsa_user_sgpr_flat_scratch_init 0
		.amdhsa_user_sgpr_private_segment_size 0
		.amdhsa_uses_dynamic_stack 0
		.amdhsa_system_sgpr_private_segment_wavefront_offset 0
		.amdhsa_system_sgpr_workgroup_id_x 1
		.amdhsa_system_sgpr_workgroup_id_y 1
		.amdhsa_system_sgpr_workgroup_id_z 0
		.amdhsa_system_sgpr_workgroup_info 0
		.amdhsa_system_vgpr_workitem_id 0
		.amdhsa_next_free_vgpr 18
		.amdhsa_next_free_sgpr 42
		.amdhsa_reserve_vcc 1
		.amdhsa_reserve_flat_scratch 0
		.amdhsa_float_round_mode_32 0
		.amdhsa_float_round_mode_16_64 0
		.amdhsa_float_denorm_mode_32 3
		.amdhsa_float_denorm_mode_16_64 3
		.amdhsa_dx10_clamp 1
		.amdhsa_ieee_mode 1
		.amdhsa_fp16_overflow 0
		.amdhsa_exception_fp_ieee_invalid_op 0
		.amdhsa_exception_fp_denorm_src 0
		.amdhsa_exception_fp_ieee_div_zero 0
		.amdhsa_exception_fp_ieee_overflow 0
		.amdhsa_exception_fp_ieee_underflow 0
		.amdhsa_exception_fp_ieee_inexact 0
		.amdhsa_exception_int_div_zero 0
	.end_amdhsa_kernel
	.section	.text._ZN9rocsolver6v33100L37stedc_mergePrepare_DeflateZero_kernelIfEEviiPT_lS3_lS3_iilS3_PiS2_,"axG",@progbits,_ZN9rocsolver6v33100L37stedc_mergePrepare_DeflateZero_kernelIfEEviiPT_lS3_lS3_iilS3_PiS2_,comdat
.Lfunc_end11:
	.size	_ZN9rocsolver6v33100L37stedc_mergePrepare_DeflateZero_kernelIfEEviiPT_lS3_lS3_iilS3_PiS2_, .Lfunc_end11-_ZN9rocsolver6v33100L37stedc_mergePrepare_DeflateZero_kernelIfEEviiPT_lS3_lS3_iilS3_PiS2_
                                        ; -- End function
	.set _ZN9rocsolver6v33100L37stedc_mergePrepare_DeflateZero_kernelIfEEviiPT_lS3_lS3_iilS3_PiS2_.num_vgpr, 18
	.set _ZN9rocsolver6v33100L37stedc_mergePrepare_DeflateZero_kernelIfEEviiPT_lS3_lS3_iilS3_PiS2_.num_agpr, 0
	.set _ZN9rocsolver6v33100L37stedc_mergePrepare_DeflateZero_kernelIfEEviiPT_lS3_lS3_iilS3_PiS2_.numbered_sgpr, 42
	.set _ZN9rocsolver6v33100L37stedc_mergePrepare_DeflateZero_kernelIfEEviiPT_lS3_lS3_iilS3_PiS2_.num_named_barrier, 0
	.set _ZN9rocsolver6v33100L37stedc_mergePrepare_DeflateZero_kernelIfEEviiPT_lS3_lS3_iilS3_PiS2_.private_seg_size, 0
	.set _ZN9rocsolver6v33100L37stedc_mergePrepare_DeflateZero_kernelIfEEviiPT_lS3_lS3_iilS3_PiS2_.uses_vcc, 1
	.set _ZN9rocsolver6v33100L37stedc_mergePrepare_DeflateZero_kernelIfEEviiPT_lS3_lS3_iilS3_PiS2_.uses_flat_scratch, 0
	.set _ZN9rocsolver6v33100L37stedc_mergePrepare_DeflateZero_kernelIfEEviiPT_lS3_lS3_iilS3_PiS2_.has_dyn_sized_stack, 0
	.set _ZN9rocsolver6v33100L37stedc_mergePrepare_DeflateZero_kernelIfEEviiPT_lS3_lS3_iilS3_PiS2_.has_recursion, 0
	.set _ZN9rocsolver6v33100L37stedc_mergePrepare_DeflateZero_kernelIfEEviiPT_lS3_lS3_iilS3_PiS2_.has_indirect_call, 0
	.section	.AMDGPU.csdata,"",@progbits
; Kernel info:
; codeLenInByte = 1812
; TotalNumSgprs: 46
; NumVgprs: 18
; ScratchSize: 0
; MemoryBound: 0
; FloatMode: 240
; IeeeMode: 1
; LDSByteSize: 4096 bytes/workgroup (compile time only)
; SGPRBlocks: 5
; VGPRBlocks: 4
; NumSGPRsForWavesPerEU: 46
; NumVGPRsForWavesPerEU: 18
; Occupancy: 10
; WaveLimiterHint : 1
; COMPUTE_PGM_RSRC2:SCRATCH_EN: 0
; COMPUTE_PGM_RSRC2:USER_SGPR: 6
; COMPUTE_PGM_RSRC2:TRAP_HANDLER: 0
; COMPUTE_PGM_RSRC2:TGID_X_EN: 1
; COMPUTE_PGM_RSRC2:TGID_Y_EN: 1
; COMPUTE_PGM_RSRC2:TGID_Z_EN: 0
; COMPUTE_PGM_RSRC2:TIDIG_COMP_CNT: 0
	.section	.text._ZN9rocsolver6v33100L31stedc_mergePrepare_SortD_kernelIfEEviiPT_lS3_Pi,"axG",@progbits,_ZN9rocsolver6v33100L31stedc_mergePrepare_SortD_kernelIfEEviiPT_lS3_Pi,comdat
	.globl	_ZN9rocsolver6v33100L31stedc_mergePrepare_SortD_kernelIfEEviiPT_lS3_Pi ; -- Begin function _ZN9rocsolver6v33100L31stedc_mergePrepare_SortD_kernelIfEEviiPT_lS3_Pi
	.p2align	8
	.type	_ZN9rocsolver6v33100L31stedc_mergePrepare_SortD_kernelIfEEviiPT_lS3_Pi,@function
_ZN9rocsolver6v33100L31stedc_mergePrepare_SortD_kernelIfEEviiPT_lS3_Pi: ; @_ZN9rocsolver6v33100L31stedc_mergePrepare_SortD_kernelIfEEviiPT_lS3_Pi
; %bb.0:
	s_load_dword s24, s[4:5], 0x4
	s_load_dwordx8 s[16:23], s[4:5], 0x8
	s_load_dword s8, s[4:5], 0x34
	s_ashr_i32 s0, s7, 31
	s_waitcnt lgkmcnt(0)
	s_ashr_i32 s25, s24, 31
	s_mul_hi_u32 s1, s18, s7
	s_mul_i32 s0, s18, s0
	s_add_i32 s0, s1, s0
	s_mul_i32 s1, s19, s7
	s_add_i32 s1, s0, s1
	s_mul_i32 s0, s18, s7
	s_lshl_b64 s[0:1], s[0:1], 2
	s_mul_i32 s31, s7, s24
	s_add_u32 s35, s16, s0
	s_mul_i32 s0, s31, 13
	s_addc_u32 s36, s17, s1
	s_ashr_i32 s1, s0, 31
	s_lshl_b64 s[0:1], s[0:1], 2
	s_add_u32 s2, s22, s0
	s_addc_u32 s3, s23, s1
	s_lshl_b32 s0, s24, 3
	s_ashr_i32 s1, s0, 31
	s_lshl_b64 s[0:1], s[0:1], 2
	s_add_u32 s37, s2, s0
	s_addc_u32 s38, s3, s1
	s_lshl_b64 s[0:1], s[24:25], 2
	s_sub_u32 s2, 0, s0
	s_subb_u32 s3, 0, s1
	s_add_u32 s25, s37, s2
	s_addc_u32 s28, s38, s3
	s_mul_i32 s3, s24, 12
	s_mul_hi_i32 s2, s24, 12
	s_add_u32 s29, s25, s3
	s_addc_u32 s30, s28, s2
	s_mul_i32 s3, s24, 0xffffffec
	s_mul_hi_i32 s2, s24, 0xffffffec
	s_add_u32 s3, s29, s3
	s_addc_u32 s4, s30, s2
	s_add_u32 s5, s3, s0
	s_addc_u32 s9, s4, s1
	s_ashr_i32 s7, s6, 31
	s_lshl_b64 s[22:23], s[6:7], 2
	s_add_u32 s0, s35, s22
	s_addc_u32 s1, s36, s23
	s_add_u32 s2, s3, s22
	s_addc_u32 s3, s4, s23
	;; [unrolled: 2-line block ×3, first 2 shown]
	s_and_b32 s34, s8, 0xffff
	s_lshl_b32 s39, s34, 3
	v_cvt_f32_u32_e32 v1, s39
	s_load_dword s40, s[2:3], 0x0
	s_sub_i32 s2, 0, s39
	s_load_dword s7, s[0:1], 0x0
	s_load_dword s33, s[4:5], 0x0
	v_rcp_iflag_f32_e32 v1, v1
	s_waitcnt lgkmcnt(0)
	s_add_i32 s0, s40, -1
	s_ashr_i32 s1, s0, 31
	v_mul_f32_e32 v1, 0x4f7ffffe, v1
	v_cvt_u32_f32_e32 v1, v1
	s_abs_i32 s0, s0
	v_readfirstlane_b32 s3, v1
	s_mul_i32 s2, s2, s3
	s_mul_hi_u32 s2, s3, s2
	s_add_i32 s3, s3, s2
	s_mul_hi_u32 s2, s0, s3
	s_mul_i32 s3, s2, s39
	s_sub_i32 s0, s0, s3
	s_add_i32 s3, s2, 1
	s_sub_i32 s4, s0, s39
	s_cmp_ge_u32 s0, s39
	s_cselect_b32 s2, s3, s2
	s_cselect_b32 s0, s4, s0
	s_add_i32 s3, s2, 1
	s_cmp_ge_u32 s0, s39
	s_cselect_b32 s0, s3, s2
	s_xor_b32 s0, s0, s1
	s_sub_i32 s0, s0, s1
	s_cmp_lt_i32 s0, 0
	s_cbranch_scc1 .LBB12_35
; %bb.1:
	s_add_u32 s2, s37, s22
	s_addc_u32 s3, s38, s23
	s_add_i32 s42, s0, 1
	s_lshl_b32 s0, s34, 1
	s_add_i32 s43, s33, s0
	s_mul_i32 s0, s34, 3
	s_load_dword s41, s[2:3], 0x0
	s_add_i32 s44, s33, s0
	s_lshl_b32 s0, s34, 2
	s_add_i32 s45, s33, s0
	s_mul_i32 s0, s34, 5
	v_mov_b32_e32 v1, 0
	s_add_i32 s46, s33, s0
	s_mul_i32 s0, s34, 6
	v_mov_b32_e32 v2, v1
	v_mov_b32_e32 v3, v1
	;; [unrolled: 1-line block ×7, first 2 shown]
	s_add_i32 s47, s33, s0
	s_mul_i32 s0, s34, 7
	v_mov_b32_e32 v9, v8
	s_add_i32 s48, s33, s0
	s_add_i32 s49, s33, s34
	v_mov_b32_e32 v23, v1
	v_mov_b32_e32 v24, v1
	;; [unrolled: 1-line block ×19, first 2 shown]
	s_branch .LBB12_3
.LBB12_2:                               ;   in Loop: Header=BB12_3 Depth=1
	s_or_b64 exec, exec, s[4:5]
	s_add_i32 s42, s42, -1
	s_cmp_eq_u32 s42, 0
	v_add_u32_e32 v19, s39, v19
	s_cbranch_scc1 .LBB12_36
.LBB12_3:                               ; =>This Inner Loop Header: Depth=1
	v_cmp_gt_i32_e32 vcc, s40, v19
	v_add_u32_e32 v10, s33, v19
	s_and_saveexec_b64 s[2:3], vcc
	s_cbranch_execz .LBB12_5
; %bb.4:                                ;   in Loop: Header=BB12_3 Depth=1
	v_ashrrev_i32_e32 v11, 31, v10
	v_lshlrev_b64 v[11:12], 2, v[10:11]
	s_waitcnt vmcnt(0)
	v_mov_b32_e32 v2, s38
	v_add_co_u32_e64 v13, s[0:1], s37, v11
	v_addc_co_u32_e64 v14, s[0:1], v2, v12, s[0:1]
	v_mov_b32_e32 v2, s36
	v_add_co_u32_e64 v11, s[0:1], s35, v11
	v_addc_co_u32_e64 v12, s[0:1], v2, v12, s[0:1]
	global_load_dword v23, v[11:12], off
	global_load_dword v2, v[13:14], off
.LBB12_5:                               ;   in Loop: Header=BB12_3 Depth=1
	s_or_b64 exec, exec, s[2:3]
	v_add_u32_e32 v13, s34, v19
	v_cmp_gt_i32_e64 s[0:1], s40, v13
	v_add_u32_e32 v11, s49, v19
	s_and_saveexec_b64 s[4:5], s[0:1]
	s_cbranch_execz .LBB12_7
; %bb.6:                                ;   in Loop: Header=BB12_3 Depth=1
	v_ashrrev_i32_e32 v12, 31, v11
	v_lshlrev_b64 v[14:15], 2, v[11:12]
	s_waitcnt vmcnt(0)
	v_mov_b32_e32 v3, s38
	v_add_co_u32_e64 v16, s[2:3], s37, v14
	v_addc_co_u32_e64 v17, s[2:3], v3, v15, s[2:3]
	v_mov_b32_e32 v3, s36
	v_add_co_u32_e64 v14, s[2:3], s35, v14
	v_addc_co_u32_e64 v15, s[2:3], v3, v15, s[2:3]
	global_load_dword v24, v[14:15], off
	global_load_dword v3, v[16:17], off
.LBB12_7:                               ;   in Loop: Header=BB12_3 Depth=1
	s_or_b64 exec, exec, s[4:5]
	v_add_u32_e32 v14, s34, v13
	v_cmp_gt_i32_e64 s[2:3], s40, v14
	v_add_u32_e32 v12, s43, v19
	s_and_saveexec_b64 s[8:9], s[2:3]
	;; [unrolled: 19-line block ×3, first 2 shown]
	s_cbranch_execz .LBB12_11
; %bb.10:                               ;   in Loop: Header=BB12_3 Depth=1
	v_ashrrev_i32_e32 v14, 31, v13
	v_lshlrev_b64 v[16:17], 2, v[13:14]
	s_waitcnt vmcnt(0)
	v_mov_b32_e32 v5, s38
	v_add_co_u32_e64 v30, s[8:9], s37, v16
	v_addc_co_u32_e64 v31, s[8:9], v5, v17, s[8:9]
	v_mov_b32_e32 v5, s36
	v_add_co_u32_e64 v16, s[8:9], s35, v16
	v_addc_co_u32_e64 v17, s[8:9], v5, v17, s[8:9]
	global_load_dword v26, v[16:17], off
	global_load_dword v5, v[30:31], off
.LBB12_11:                              ;   in Loop: Header=BB12_3 Depth=1
	s_or_b64 exec, exec, s[10:11]
	v_add_u32_e32 v16, s34, v15
	v_cmp_gt_i32_e64 s[8:9], s40, v16
	v_add_u32_e32 v14, s45, v19
	s_and_saveexec_b64 s[12:13], s[8:9]
	s_cbranch_execz .LBB12_13
; %bb.12:                               ;   in Loop: Header=BB12_3 Depth=1
	v_ashrrev_i32_e32 v15, 31, v14
	v_lshlrev_b64 v[30:31], 2, v[14:15]
	s_waitcnt vmcnt(0)
	v_mov_b32_e32 v6, s38
	v_add_co_u32_e64 v32, s[10:11], s37, v30
	v_addc_co_u32_e64 v33, s[10:11], v6, v31, s[10:11]
	v_mov_b32_e32 v6, s36
	v_add_co_u32_e64 v30, s[10:11], s35, v30
	v_addc_co_u32_e64 v31, s[10:11], v6, v31, s[10:11]
	global_load_dword v27, v[30:31], off
	global_load_dword v6, v[32:33], off
.LBB12_13:                              ;   in Loop: Header=BB12_3 Depth=1
	s_or_b64 exec, exec, s[12:13]
	v_add_u32_e32 v17, s34, v16
	v_cmp_gt_i32_e64 s[10:11], s40, v17
	v_add_u32_e32 v15, s46, v19
	s_and_saveexec_b64 s[14:15], s[10:11]
	;; [unrolled: 19-line block ×4, first 2 shown]
	s_cbranch_execnz .LBB12_26
; %bb.18:                               ;   in Loop: Header=BB12_3 Depth=1
	s_or_b64 exec, exec, s[18:19]
	s_and_saveexec_b64 s[26:27], vcc
	s_cbranch_execnz .LBB12_27
.LBB12_19:                              ;   in Loop: Header=BB12_3 Depth=1
	s_or_b64 exec, exec, s[26:27]
	s_and_saveexec_b64 s[18:19], s[0:1]
	s_cbranch_execnz .LBB12_28
.LBB12_20:                              ;   in Loop: Header=BB12_3 Depth=1
	s_or_b64 exec, exec, s[18:19]
	s_and_saveexec_b64 s[16:17], s[2:3]
	s_cbranch_execnz .LBB12_29
.LBB12_21:                              ;   in Loop: Header=BB12_3 Depth=1
	s_or_b64 exec, exec, s[16:17]
	s_and_saveexec_b64 s[16:17], s[4:5]
	s_cbranch_execnz .LBB12_30
.LBB12_22:                              ;   in Loop: Header=BB12_3 Depth=1
	s_or_b64 exec, exec, s[16:17]
	s_and_saveexec_b64 s[4:5], s[8:9]
	s_cbranch_execnz .LBB12_31
.LBB12_23:                              ;   in Loop: Header=BB12_3 Depth=1
	s_or_b64 exec, exec, s[4:5]
	s_and_saveexec_b64 s[4:5], s[10:11]
	s_cbranch_execnz .LBB12_32
.LBB12_24:                              ;   in Loop: Header=BB12_3 Depth=1
	s_or_b64 exec, exec, s[4:5]
	s_and_saveexec_b64 s[4:5], s[12:13]
	s_cbranch_execnz .LBB12_33
.LBB12_25:                              ;   in Loop: Header=BB12_3 Depth=1
	s_or_b64 exec, exec, s[4:5]
	s_and_saveexec_b64 s[4:5], s[14:15]
	s_cbranch_execz .LBB12_2
	s_branch .LBB12_34
.LBB12_26:                              ;   in Loop: Header=BB12_3 Depth=1
	s_waitcnt vmcnt(1)
	v_ashrrev_i32_e32 v18, 31, v17
	v_lshlrev_b64 v[30:31], 2, v[17:18]
	s_waitcnt vmcnt(0)
	v_mov_b32_e32 v9, s38
	v_add_co_u32_e64 v32, s[16:17], s37, v30
	v_addc_co_u32_e64 v33, s[16:17], v9, v31, s[16:17]
	v_mov_b32_e32 v9, s36
	v_add_co_u32_e64 v30, s[16:17], s35, v30
	v_addc_co_u32_e64 v31, s[16:17], v9, v31, s[16:17]
	global_load_dword v18, v[30:31], off
	global_load_dword v9, v[32:33], off
	s_or_b64 exec, exec, s[18:19]
	s_and_saveexec_b64 s[26:27], vcc
	s_cbranch_execz .LBB12_19
.LBB12_27:                              ;   in Loop: Header=BB12_3 Depth=1
	s_waitcnt vmcnt(1)
	v_cmp_u_f32_e32 vcc, v23, v23
	v_addc_co_u32_e32 v20, vcc, 0, v20, vcc
	s_waitcnt vmcnt(0)
	v_cmp_lt_i32_e32 vcc, 0, v2
	v_addc_co_u32_e32 v1, vcc, 0, v1, vcc
	s_waitcnt lgkmcnt(0)
	v_cmp_eq_u32_e64 s[16:17], s41, v2
	v_cmp_gt_f32_e64 s[18:19], s7, v23
	v_cmp_lt_i32_e32 vcc, s41, v2
	s_and_b64 s[18:19], s[16:17], s[18:19]
	s_or_b64 vcc, vcc, s[18:19]
	v_addc_co_u32_e32 v22, vcc, 0, v22, vcc
	v_cmp_eq_f32_e32 vcc, s7, v23
	s_and_b64 s[16:17], s[16:17], vcc
	v_cmp_gt_i32_e32 vcc, s6, v10
	s_and_b64 vcc, s[16:17], vcc
	v_addc_co_u32_e32 v21, vcc, 0, v21, vcc
	s_or_b64 exec, exec, s[26:27]
	s_and_saveexec_b64 s[18:19], s[0:1]
	s_cbranch_execz .LBB12_20
.LBB12_28:                              ;   in Loop: Header=BB12_3 Depth=1
	s_waitcnt vmcnt(1)
	v_cmp_u_f32_e32 vcc, v24, v24
	v_addc_co_u32_e32 v20, vcc, 0, v20, vcc
	s_waitcnt vmcnt(0)
	v_cmp_lt_i32_e32 vcc, 0, v3
	v_addc_co_u32_e32 v1, vcc, 0, v1, vcc
	s_waitcnt lgkmcnt(0)
	v_cmp_eq_u32_e64 s[0:1], s41, v3
	v_cmp_gt_f32_e64 s[16:17], s7, v24
	v_cmp_lt_i32_e32 vcc, s41, v3
	s_and_b64 s[16:17], s[0:1], s[16:17]
	s_or_b64 vcc, vcc, s[16:17]
	v_addc_co_u32_e32 v22, vcc, 0, v22, vcc
	v_cmp_eq_f32_e32 vcc, s7, v24
	s_and_b64 s[0:1], s[0:1], vcc
	v_cmp_gt_i32_e32 vcc, s6, v11
	s_and_b64 vcc, s[0:1], vcc
	v_addc_co_u32_e32 v21, vcc, 0, v21, vcc
	s_or_b64 exec, exec, s[18:19]
	s_and_saveexec_b64 s[16:17], s[2:3]
	s_cbranch_execz .LBB12_21
.LBB12_29:                              ;   in Loop: Header=BB12_3 Depth=1
	s_waitcnt vmcnt(1)
	v_cmp_u_f32_e32 vcc, v25, v25
	v_addc_co_u32_e32 v20, vcc, 0, v20, vcc
	s_waitcnt vmcnt(0)
	v_cmp_lt_i32_e32 vcc, 0, v4
	v_addc_co_u32_e32 v1, vcc, 0, v1, vcc
	s_waitcnt lgkmcnt(0)
	v_cmp_eq_u32_e64 s[0:1], s41, v4
	v_cmp_gt_f32_e64 s[2:3], s7, v25
	v_cmp_lt_i32_e32 vcc, s41, v4
	s_and_b64 s[2:3], s[0:1], s[2:3]
	s_or_b64 vcc, vcc, s[2:3]
	v_addc_co_u32_e32 v22, vcc, 0, v22, vcc
	v_cmp_eq_f32_e32 vcc, s7, v25
	s_and_b64 s[0:1], s[0:1], vcc
	v_cmp_gt_i32_e32 vcc, s6, v12
	s_and_b64 vcc, s[0:1], vcc
	v_addc_co_u32_e32 v21, vcc, 0, v21, vcc
	s_or_b64 exec, exec, s[16:17]
	s_and_saveexec_b64 s[16:17], s[4:5]
	s_cbranch_execz .LBB12_22
.LBB12_30:                              ;   in Loop: Header=BB12_3 Depth=1
	s_waitcnt vmcnt(1)
	v_cmp_u_f32_e32 vcc, v26, v26
	v_addc_co_u32_e32 v20, vcc, 0, v20, vcc
	s_waitcnt vmcnt(0)
	v_cmp_lt_i32_e32 vcc, 0, v5
	v_addc_co_u32_e32 v1, vcc, 0, v1, vcc
	s_waitcnt lgkmcnt(0)
	v_cmp_eq_u32_e64 s[0:1], s41, v5
	v_cmp_gt_f32_e64 s[2:3], s7, v26
	v_cmp_lt_i32_e32 vcc, s41, v5
	s_and_b64 s[2:3], s[0:1], s[2:3]
	s_or_b64 vcc, vcc, s[2:3]
	v_addc_co_u32_e32 v22, vcc, 0, v22, vcc
	v_cmp_eq_f32_e32 vcc, s7, v26
	s_and_b64 s[0:1], s[0:1], vcc
	v_cmp_gt_i32_e32 vcc, s6, v13
	s_and_b64 vcc, s[0:1], vcc
	v_addc_co_u32_e32 v21, vcc, 0, v21, vcc
	s_or_b64 exec, exec, s[16:17]
	s_and_saveexec_b64 s[4:5], s[8:9]
	s_cbranch_execz .LBB12_23
.LBB12_31:                              ;   in Loop: Header=BB12_3 Depth=1
	s_waitcnt vmcnt(1)
	v_cmp_u_f32_e32 vcc, v27, v27
	v_addc_co_u32_e32 v20, vcc, 0, v20, vcc
	s_waitcnt vmcnt(0)
	v_cmp_lt_i32_e32 vcc, 0, v6
	v_addc_co_u32_e32 v1, vcc, 0, v1, vcc
	s_waitcnt lgkmcnt(0)
	v_cmp_eq_u32_e64 s[0:1], s41, v6
	v_cmp_gt_f32_e64 s[2:3], s7, v27
	v_cmp_lt_i32_e32 vcc, s41, v6
	s_and_b64 s[2:3], s[0:1], s[2:3]
	s_or_b64 vcc, vcc, s[2:3]
	v_addc_co_u32_e32 v22, vcc, 0, v22, vcc
	v_cmp_eq_f32_e32 vcc, s7, v27
	s_and_b64 s[0:1], s[0:1], vcc
	v_cmp_gt_i32_e32 vcc, s6, v14
	s_and_b64 vcc, s[0:1], vcc
	v_addc_co_u32_e32 v21, vcc, 0, v21, vcc
	s_or_b64 exec, exec, s[4:5]
	s_and_saveexec_b64 s[4:5], s[10:11]
	s_cbranch_execz .LBB12_24
.LBB12_32:                              ;   in Loop: Header=BB12_3 Depth=1
	s_waitcnt vmcnt(1)
	v_cmp_u_f32_e32 vcc, v28, v28
	v_addc_co_u32_e32 v20, vcc, 0, v20, vcc
	s_waitcnt vmcnt(0)
	v_cmp_lt_i32_e32 vcc, 0, v7
	v_addc_co_u32_e32 v1, vcc, 0, v1, vcc
	s_waitcnt lgkmcnt(0)
	v_cmp_eq_u32_e64 s[0:1], s41, v7
	v_cmp_gt_f32_e64 s[2:3], s7, v28
	v_cmp_lt_i32_e32 vcc, s41, v7
	s_and_b64 s[2:3], s[0:1], s[2:3]
	s_or_b64 vcc, vcc, s[2:3]
	v_addc_co_u32_e32 v22, vcc, 0, v22, vcc
	v_cmp_eq_f32_e32 vcc, s7, v28
	s_and_b64 s[0:1], s[0:1], vcc
	v_cmp_gt_i32_e32 vcc, s6, v15
	s_and_b64 vcc, s[0:1], vcc
	v_addc_co_u32_e32 v21, vcc, 0, v21, vcc
	s_or_b64 exec, exec, s[4:5]
	s_and_saveexec_b64 s[4:5], s[12:13]
	s_cbranch_execz .LBB12_25
.LBB12_33:                              ;   in Loop: Header=BB12_3 Depth=1
	s_waitcnt vmcnt(1)
	v_cmp_u_f32_e32 vcc, v29, v29
	v_addc_co_u32_e32 v20, vcc, 0, v20, vcc
	s_waitcnt vmcnt(0)
	v_cmp_lt_i32_e32 vcc, 0, v8
	v_addc_co_u32_e32 v1, vcc, 0, v1, vcc
	s_waitcnt lgkmcnt(0)
	v_cmp_eq_u32_e64 s[0:1], s41, v8
	v_cmp_gt_f32_e64 s[2:3], s7, v29
	v_cmp_lt_i32_e32 vcc, s41, v8
	s_and_b64 s[2:3], s[0:1], s[2:3]
	s_or_b64 vcc, vcc, s[2:3]
	v_addc_co_u32_e32 v22, vcc, 0, v22, vcc
	v_cmp_eq_f32_e32 vcc, s7, v29
	s_and_b64 s[0:1], s[0:1], vcc
	v_cmp_gt_i32_e32 vcc, s6, v16
	s_and_b64 vcc, s[0:1], vcc
	v_addc_co_u32_e32 v21, vcc, 0, v21, vcc
	s_or_b64 exec, exec, s[4:5]
	s_and_saveexec_b64 s[4:5], s[14:15]
	s_cbranch_execz .LBB12_2
.LBB12_34:                              ;   in Loop: Header=BB12_3 Depth=1
	s_waitcnt vmcnt(1)
	v_cmp_u_f32_e32 vcc, v18, v18
	v_addc_co_u32_e32 v20, vcc, 0, v20, vcc
	s_waitcnt vmcnt(0)
	v_cmp_lt_i32_e32 vcc, 0, v9
	v_addc_co_u32_e32 v1, vcc, 0, v1, vcc
	s_waitcnt lgkmcnt(0)
	v_cmp_eq_u32_e64 s[0:1], s41, v9
	v_cmp_gt_f32_e64 s[2:3], s7, v18
	v_cmp_lt_i32_e32 vcc, s41, v9
	s_and_b64 s[2:3], s[0:1], s[2:3]
	s_or_b64 vcc, vcc, s[2:3]
	v_addc_co_u32_e32 v22, vcc, 0, v22, vcc
	v_cmp_eq_f32_e32 vcc, s7, v18
	s_and_b64 s[0:1], s[0:1], vcc
	v_cmp_gt_i32_e32 vcc, s6, v17
	s_and_b64 vcc, s[0:1], vcc
	v_addc_co_u32_e32 v21, vcc, 0, v21, vcc
	s_branch .LBB12_2
.LBB12_35:
	s_mov_b64 s[0:1], -1
	v_mov_b32_e32 v2, 0
	v_mov_b32_e32 v1, 0
	v_lshlrev_b32_e32 v3, 2, v0
	s_cmp_lt_u32 s34, 2
	ds_write2st64_b32 v3, v1, v2 offset1:8
	s_cbranch_scc0 .LBB12_37
	s_branch .LBB12_42
.LBB12_36:
	s_waitcnt vmcnt(0)
	v_add_u32_e32 v2, v21, v22
	v_cmp_eq_u32_e64 s[0:1], 0, v20
	v_lshlrev_b32_e32 v3, 2, v0
	s_cmp_lt_u32 s34, 2
	ds_write2st64_b32 v3, v1, v2 offset1:8
	s_cbranch_scc1 .LBB12_42
.LBB12_37:
	v_or_b32_e32 v4, 0x800, v3
.LBB12_38:                              ; =>This Inner Loop Header: Depth=1
	s_lshr_b32 s4, s34, 1
	v_cmp_gt_u32_e32 vcc, s4, v0
	s_waitcnt lgkmcnt(0)
	s_barrier
	s_and_saveexec_b64 s[2:3], vcc
	s_cbranch_execz .LBB12_40
; %bb.39:                               ;   in Loop: Header=BB12_38 Depth=1
	s_lshl_b32 s5, s4, 2
	v_add_u32_e32 v5, s5, v4
	v_add_u32_e32 v6, s5, v3
	ds_read_b32 v5, v5
	ds_read_b32 v6, v6
	s_waitcnt lgkmcnt(1)
	v_add_u32_e32 v2, v5, v2
	s_waitcnt lgkmcnt(0)
	v_add_u32_e32 v1, v6, v1
	ds_write_b32 v4, v2
	ds_write_b32 v3, v1
.LBB12_40:                              ;   in Loop: Header=BB12_38 Depth=1
	s_or_b64 exec, exec, s[2:3]
	s_cmp_lt_u32 s34, 4
	s_cbranch_scc1 .LBB12_42
; %bb.41:                               ;   in Loop: Header=BB12_38 Depth=1
	s_mov_b32 s34, s4
	s_branch .LBB12_38
.LBB12_42:
	s_mul_i32 s4, s31, 10
	s_mul_i32 s2, s24, 6
	s_ashr_i32 s5, s4, 31
	s_xor_b64 s[0:1], s[0:1], -1
	s_ashr_i32 s3, s2, 31
	s_lshl_b64 s[4:5], s[4:5], 2
	s_add_u32 s4, s20, s4
	s_addc_u32 s5, s21, s5
	s_lshl_b64 s[2:3], s[2:3], 2
	s_add_u32 s4, s4, s2
	s_addc_u32 s5, s5, s3
	v_cmp_eq_u32_e32 vcc, 0, v0
	s_and_saveexec_b64 s[2:3], vcc
	s_cbranch_execz .LBB12_44
; %bb.43:
	v_add_u32_e32 v2, s33, v2
	v_ashrrev_i32_e32 v3, 31, v2
	v_lshlrev_b64 v[2:3], 2, v[2:3]
	v_mov_b32_e32 v0, s5
	v_add_co_u32_e32 v4, vcc, s4, v2
	v_addc_co_u32_e32 v5, vcc, v0, v3, vcc
	v_mov_b32_e32 v0, s30
	v_add_co_u32_e32 v6, vcc, s29, v2
	v_addc_co_u32_e32 v7, vcc, v0, v3, vcc
	;; [unrolled: 3-line block ×3, first 2 shown]
	v_mov_b32_e32 v0, s6
	global_store_dword v[2:3], v1, off
	global_store_dword v[6:7], v0, off
	v_mov_b32_e32 v0, s7
	global_store_dword v[4:5], v0, off
.LBB12_44:
	s_or_b64 exec, exec, s[2:3]
	s_waitcnt vmcnt(0) lgkmcnt(0)
	s_barrier
	s_and_saveexec_b64 s[2:3], s[0:1]
	s_cbranch_execz .LBB12_46
; %bb.45:
	s_add_u32 s0, s4, s22
	s_addc_u32 s1, s5, s23
	v_mov_b32_e32 v0, 0
	v_mov_b32_e32 v1, 0x7fc00000
	global_store_dword v0, v1, s[0:1]
.LBB12_46:
	s_endpgm
	.section	.rodata,"a",@progbits
	.p2align	6, 0x0
	.amdhsa_kernel _ZN9rocsolver6v33100L31stedc_mergePrepare_SortD_kernelIfEEviiPT_lS3_Pi
		.amdhsa_group_segment_fixed_size 4096
		.amdhsa_private_segment_fixed_size 0
		.amdhsa_kernarg_size 296
		.amdhsa_user_sgpr_count 6
		.amdhsa_user_sgpr_private_segment_buffer 1
		.amdhsa_user_sgpr_dispatch_ptr 0
		.amdhsa_user_sgpr_queue_ptr 0
		.amdhsa_user_sgpr_kernarg_segment_ptr 1
		.amdhsa_user_sgpr_dispatch_id 0
		.amdhsa_user_sgpr_flat_scratch_init 0
		.amdhsa_user_sgpr_private_segment_size 0
		.amdhsa_uses_dynamic_stack 0
		.amdhsa_system_sgpr_private_segment_wavefront_offset 0
		.amdhsa_system_sgpr_workgroup_id_x 1
		.amdhsa_system_sgpr_workgroup_id_y 1
		.amdhsa_system_sgpr_workgroup_id_z 0
		.amdhsa_system_sgpr_workgroup_info 0
		.amdhsa_system_vgpr_workitem_id 0
		.amdhsa_next_free_vgpr 35
		.amdhsa_next_free_sgpr 50
		.amdhsa_reserve_vcc 1
		.amdhsa_reserve_flat_scratch 0
		.amdhsa_float_round_mode_32 0
		.amdhsa_float_round_mode_16_64 0
		.amdhsa_float_denorm_mode_32 3
		.amdhsa_float_denorm_mode_16_64 3
		.amdhsa_dx10_clamp 1
		.amdhsa_ieee_mode 1
		.amdhsa_fp16_overflow 0
		.amdhsa_exception_fp_ieee_invalid_op 0
		.amdhsa_exception_fp_denorm_src 0
		.amdhsa_exception_fp_ieee_div_zero 0
		.amdhsa_exception_fp_ieee_overflow 0
		.amdhsa_exception_fp_ieee_underflow 0
		.amdhsa_exception_fp_ieee_inexact 0
		.amdhsa_exception_int_div_zero 0
	.end_amdhsa_kernel
	.section	.text._ZN9rocsolver6v33100L31stedc_mergePrepare_SortD_kernelIfEEviiPT_lS3_Pi,"axG",@progbits,_ZN9rocsolver6v33100L31stedc_mergePrepare_SortD_kernelIfEEviiPT_lS3_Pi,comdat
.Lfunc_end12:
	.size	_ZN9rocsolver6v33100L31stedc_mergePrepare_SortD_kernelIfEEviiPT_lS3_Pi, .Lfunc_end12-_ZN9rocsolver6v33100L31stedc_mergePrepare_SortD_kernelIfEEviiPT_lS3_Pi
                                        ; -- End function
	.set _ZN9rocsolver6v33100L31stedc_mergePrepare_SortD_kernelIfEEviiPT_lS3_Pi.num_vgpr, 35
	.set _ZN9rocsolver6v33100L31stedc_mergePrepare_SortD_kernelIfEEviiPT_lS3_Pi.num_agpr, 0
	.set _ZN9rocsolver6v33100L31stedc_mergePrepare_SortD_kernelIfEEviiPT_lS3_Pi.numbered_sgpr, 50
	.set _ZN9rocsolver6v33100L31stedc_mergePrepare_SortD_kernelIfEEviiPT_lS3_Pi.num_named_barrier, 0
	.set _ZN9rocsolver6v33100L31stedc_mergePrepare_SortD_kernelIfEEviiPT_lS3_Pi.private_seg_size, 0
	.set _ZN9rocsolver6v33100L31stedc_mergePrepare_SortD_kernelIfEEviiPT_lS3_Pi.uses_vcc, 1
	.set _ZN9rocsolver6v33100L31stedc_mergePrepare_SortD_kernelIfEEviiPT_lS3_Pi.uses_flat_scratch, 0
	.set _ZN9rocsolver6v33100L31stedc_mergePrepare_SortD_kernelIfEEviiPT_lS3_Pi.has_dyn_sized_stack, 0
	.set _ZN9rocsolver6v33100L31stedc_mergePrepare_SortD_kernelIfEEviiPT_lS3_Pi.has_recursion, 0
	.set _ZN9rocsolver6v33100L31stedc_mergePrepare_SortD_kernelIfEEviiPT_lS3_Pi.has_indirect_call, 0
	.section	.AMDGPU.csdata,"",@progbits
; Kernel info:
; codeLenInByte = 2584
; TotalNumSgprs: 54
; NumVgprs: 35
; ScratchSize: 0
; MemoryBound: 0
; FloatMode: 240
; IeeeMode: 1
; LDSByteSize: 4096 bytes/workgroup (compile time only)
; SGPRBlocks: 6
; VGPRBlocks: 8
; NumSGPRsForWavesPerEU: 54
; NumVGPRsForWavesPerEU: 35
; Occupancy: 7
; WaveLimiterHint : 1
; COMPUTE_PGM_RSRC2:SCRATCH_EN: 0
; COMPUTE_PGM_RSRC2:USER_SGPR: 6
; COMPUTE_PGM_RSRC2:TRAP_HANDLER: 0
; COMPUTE_PGM_RSRC2:TGID_X_EN: 1
; COMPUTE_PGM_RSRC2:TGID_Y_EN: 1
; COMPUTE_PGM_RSRC2:TGID_Z_EN: 0
; COMPUTE_PGM_RSRC2:TIDIG_COMP_CNT: 0
	.section	.text._ZN9rocsolver6v33100L38stedc_mergePrepare_SetCandFlags_kernelIfEEviiPT_lS3_Pi,"axG",@progbits,_ZN9rocsolver6v33100L38stedc_mergePrepare_SetCandFlags_kernelIfEEviiPT_lS3_Pi,comdat
	.globl	_ZN9rocsolver6v33100L38stedc_mergePrepare_SetCandFlags_kernelIfEEviiPT_lS3_Pi ; -- Begin function _ZN9rocsolver6v33100L38stedc_mergePrepare_SetCandFlags_kernelIfEEviiPT_lS3_Pi
	.p2align	8
	.type	_ZN9rocsolver6v33100L38stedc_mergePrepare_SetCandFlags_kernelIfEEviiPT_lS3_Pi,@function
_ZN9rocsolver6v33100L38stedc_mergePrepare_SetCandFlags_kernelIfEEviiPT_lS3_Pi: ; @_ZN9rocsolver6v33100L38stedc_mergePrepare_SetCandFlags_kernelIfEEviiPT_lS3_Pi
; %bb.0:
	s_load_dword s1, s[4:5], 0x34
	s_load_dword s0, s[4:5], 0x4
	s_waitcnt lgkmcnt(0)
	s_and_b32 s1, s1, 0xffff
	s_mul_i32 s6, s6, s1
	v_add_u32_e32 v0, s6, v0
	v_cmp_gt_i32_e32 vcc, s0, v0
	s_and_saveexec_b64 s[2:3], vcc
	s_cbranch_execz .LBB13_6
; %bb.1:
	s_load_dwordx4 s[8:11], s[4:5], 0x18
	s_mul_i32 s12, s0, s7
	s_mul_i32 s2, s12, 13
	s_ashr_i32 s3, s2, 31
	s_lshl_b64 s[2:3], s[2:3], 2
	s_waitcnt lgkmcnt(0)
	s_add_u32 s1, s10, s2
	s_mul_i32 s2, s0, 6
	s_addc_u32 s5, s11, s3
	s_ashr_i32 s3, s2, 31
	s_lshl_b64 s[2:3], s[2:3], 2
	s_add_u32 s4, s1, s2
	s_addc_u32 s5, s5, s3
	s_ashr_i32 s1, s0, 31
	s_mul_i32 s3, s0, 20
	s_mul_hi_i32 s2, s0, 20
	s_add_u32 s6, s4, s3
	s_addc_u32 s7, s5, s2
	s_mul_i32 s2, s12, 10
	s_ashr_i32 s3, s2, 31
	s_lshl_b64 s[2:3], s[2:3], 2
	s_add_u32 s8, s8, s2
	s_addc_u32 s9, s9, s3
	s_lshl_b32 s2, s0, 2
	s_ashr_i32 s3, s2, 31
	v_max_i32_e32 v1, 1, v0
	s_lshl_b64 s[2:3], s[2:3], 2
	v_add_u32_e32 v3, -1, v1
	v_ashrrev_i32_e32 v1, 31, v0
	s_add_u32 s10, s8, s2
	v_lshlrev_b64 v[1:2], 2, v[0:1]
	s_addc_u32 s11, s9, s3
	s_lshl_b64 s[2:3], s[0:1], 3
	s_add_u32 s8, s10, s2
	v_mov_b32_e32 v4, s11
	v_add_co_u32_e32 v7, vcc, s10, v1
	s_addc_u32 s9, s11, s3
	v_addc_co_u32_e32 v8, vcc, v4, v2, vcc
	v_mov_b32_e32 v4, s9
	v_add_co_u32_e32 v9, vcc, s8, v1
	s_lshl_b64 s[2:3], s[0:1], 4
	v_addc_co_u32_e32 v10, vcc, v4, v2, vcc
	v_mov_b32_e32 v4, 0
	s_sub_u32 s1, 0, s2
	v_lshlrev_b64 v[11:12], 2, v[3:4]
	s_subb_u32 s2, 0, s3
	s_add_u32 s1, s6, s1
	v_mov_b32_e32 v3, s9
	v_add_co_u32_e32 v13, vcc, s8, v11
	s_addc_u32 s2, s7, s2
	v_addc_co_u32_e32 v14, vcc, v3, v12, vcc
	global_load_dword v3, v[7:8], off
	global_load_dword v5, v[9:10], off
	;; [unrolled: 1-line block ×3, first 2 shown]
	v_mov_b32_e32 v7, s2
	v_add_co_u32_e32 v9, vcc, s1, v1
	v_addc_co_u32_e32 v10, vcc, v7, v2, vcc
	v_mov_b32_e32 v7, s5
	v_add_co_u32_e32 v13, vcc, s4, v1
	v_addc_co_u32_e32 v14, vcc, v7, v2, vcc
	global_load_dword v7, v[9:10], off
	global_load_dword v8, v[13:14], off
	v_mov_b32_e32 v10, s5
	v_add_co_u32_e32 v9, vcc, s4, v11
	v_addc_co_u32_e32 v10, vcc, v10, v12, vcc
	global_load_dword v9, v[9:10], off
	s_waitcnt vmcnt(2)
	v_add_u32_e32 v11, -1, v7
	s_waitcnt vmcnt(1)
	v_sub_u32_e32 v10, v0, v8
	v_cmp_lt_i32_e32 vcc, v10, v11
	s_and_saveexec_b64 s[2:3], vcc
	s_cbranch_execz .LBB13_5
; %bb.2:
	v_add_u32_e32 v4, 1, v0
	v_cmp_gt_i32_e32 vcc, s0, v4
	v_cndmask_b32_e32 v11, v0, v4, vcc
	v_ashrrev_i32_e32 v12, 31, v11
	v_lshlrev_b64 v[11:12], 2, v[11:12]
	v_mov_b32_e32 v4, s9
	v_add_co_u32_e32 v13, vcc, s8, v11
	v_addc_co_u32_e32 v14, vcc, v4, v12, vcc
	v_mov_b32_e32 v4, s5
	v_add_co_u32_e32 v11, vcc, s4, v11
	v_addc_co_u32_e32 v12, vcc, v4, v12, vcc
	global_load_dword v4, v[11:12], off
	global_load_dword v15, v[13:14], off
	s_waitcnt vmcnt(1)
	v_cmp_eq_u32_e32 vcc, v8, v4
	s_waitcnt vmcnt(0)
	v_sub_f32_e32 v4, v5, v15
	v_cmp_le_f32_e64 s[4:5], |v4|, v3
	s_and_b64 s[8:9], vcc, s[4:5]
	v_mov_b32_e32 v4, 0
	s_and_saveexec_b64 s[4:5], s[8:9]
; %bb.3:
	s_add_i32 s0, s0, -1
	v_cmp_ne_u32_e32 vcc, s0, v0
	v_cndmask_b32_e64 v4, 0, 1, vcc
; %bb.4:
	s_or_b64 exec, exec, s[4:5]
.LBB13_5:
	s_or_b64 exec, exec, s[2:3]
	v_cmp_ge_i32_e32 vcc, v10, v7
	s_waitcnt vmcnt(0)
	v_cmp_ne_u32_e64 s[0:1], v8, v9
	v_sub_f32_e32 v5, v5, v6
	s_or_b64 s[0:1], vcc, s[0:1]
	v_cmp_nle_f32_e64 s[2:3], |v5|, v3
	v_cmp_lt_i32_e32 vcc, 0, v0
	v_cndmask_b32_e64 v0, 0, 2, vcc
	s_or_b64 s[0:1], s[0:1], s[2:3]
	v_cndmask_b32_e64 v0, v0, 0, s[0:1]
	v_or_b32_e32 v3, v4, v0
	v_mov_b32_e32 v4, s7
	v_add_co_u32_e32 v0, vcc, s6, v1
	v_addc_co_u32_e32 v1, vcc, v4, v2, vcc
	global_store_dword v[0:1], v3, off
.LBB13_6:
	s_endpgm
	.section	.rodata,"a",@progbits
	.p2align	6, 0x0
	.amdhsa_kernel _ZN9rocsolver6v33100L38stedc_mergePrepare_SetCandFlags_kernelIfEEviiPT_lS3_Pi
		.amdhsa_group_segment_fixed_size 0
		.amdhsa_private_segment_fixed_size 0
		.amdhsa_kernarg_size 296
		.amdhsa_user_sgpr_count 6
		.amdhsa_user_sgpr_private_segment_buffer 1
		.amdhsa_user_sgpr_dispatch_ptr 0
		.amdhsa_user_sgpr_queue_ptr 0
		.amdhsa_user_sgpr_kernarg_segment_ptr 1
		.amdhsa_user_sgpr_dispatch_id 0
		.amdhsa_user_sgpr_flat_scratch_init 0
		.amdhsa_user_sgpr_private_segment_size 0
		.amdhsa_uses_dynamic_stack 0
		.amdhsa_system_sgpr_private_segment_wavefront_offset 0
		.amdhsa_system_sgpr_workgroup_id_x 1
		.amdhsa_system_sgpr_workgroup_id_y 1
		.amdhsa_system_sgpr_workgroup_id_z 0
		.amdhsa_system_sgpr_workgroup_info 0
		.amdhsa_system_vgpr_workitem_id 0
		.amdhsa_next_free_vgpr 16
		.amdhsa_next_free_sgpr 13
		.amdhsa_reserve_vcc 1
		.amdhsa_reserve_flat_scratch 0
		.amdhsa_float_round_mode_32 0
		.amdhsa_float_round_mode_16_64 0
		.amdhsa_float_denorm_mode_32 3
		.amdhsa_float_denorm_mode_16_64 3
		.amdhsa_dx10_clamp 1
		.amdhsa_ieee_mode 1
		.amdhsa_fp16_overflow 0
		.amdhsa_exception_fp_ieee_invalid_op 0
		.amdhsa_exception_fp_denorm_src 0
		.amdhsa_exception_fp_ieee_div_zero 0
		.amdhsa_exception_fp_ieee_overflow 0
		.amdhsa_exception_fp_ieee_underflow 0
		.amdhsa_exception_fp_ieee_inexact 0
		.amdhsa_exception_int_div_zero 0
	.end_amdhsa_kernel
	.section	.text._ZN9rocsolver6v33100L38stedc_mergePrepare_SetCandFlags_kernelIfEEviiPT_lS3_Pi,"axG",@progbits,_ZN9rocsolver6v33100L38stedc_mergePrepare_SetCandFlags_kernelIfEEviiPT_lS3_Pi,comdat
.Lfunc_end13:
	.size	_ZN9rocsolver6v33100L38stedc_mergePrepare_SetCandFlags_kernelIfEEviiPT_lS3_Pi, .Lfunc_end13-_ZN9rocsolver6v33100L38stedc_mergePrepare_SetCandFlags_kernelIfEEviiPT_lS3_Pi
                                        ; -- End function
	.set _ZN9rocsolver6v33100L38stedc_mergePrepare_SetCandFlags_kernelIfEEviiPT_lS3_Pi.num_vgpr, 16
	.set _ZN9rocsolver6v33100L38stedc_mergePrepare_SetCandFlags_kernelIfEEviiPT_lS3_Pi.num_agpr, 0
	.set _ZN9rocsolver6v33100L38stedc_mergePrepare_SetCandFlags_kernelIfEEviiPT_lS3_Pi.numbered_sgpr, 13
	.set _ZN9rocsolver6v33100L38stedc_mergePrepare_SetCandFlags_kernelIfEEviiPT_lS3_Pi.num_named_barrier, 0
	.set _ZN9rocsolver6v33100L38stedc_mergePrepare_SetCandFlags_kernelIfEEviiPT_lS3_Pi.private_seg_size, 0
	.set _ZN9rocsolver6v33100L38stedc_mergePrepare_SetCandFlags_kernelIfEEviiPT_lS3_Pi.uses_vcc, 1
	.set _ZN9rocsolver6v33100L38stedc_mergePrepare_SetCandFlags_kernelIfEEviiPT_lS3_Pi.uses_flat_scratch, 0
	.set _ZN9rocsolver6v33100L38stedc_mergePrepare_SetCandFlags_kernelIfEEviiPT_lS3_Pi.has_dyn_sized_stack, 0
	.set _ZN9rocsolver6v33100L38stedc_mergePrepare_SetCandFlags_kernelIfEEviiPT_lS3_Pi.has_recursion, 0
	.set _ZN9rocsolver6v33100L38stedc_mergePrepare_SetCandFlags_kernelIfEEviiPT_lS3_Pi.has_indirect_call, 0
	.section	.AMDGPU.csdata,"",@progbits
; Kernel info:
; codeLenInByte = 584
; TotalNumSgprs: 17
; NumVgprs: 16
; ScratchSize: 0
; MemoryBound: 0
; FloatMode: 240
; IeeeMode: 1
; LDSByteSize: 0 bytes/workgroup (compile time only)
; SGPRBlocks: 2
; VGPRBlocks: 3
; NumSGPRsForWavesPerEU: 17
; NumVGPRsForWavesPerEU: 16
; Occupancy: 10
; WaveLimiterHint : 0
; COMPUTE_PGM_RSRC2:SCRATCH_EN: 0
; COMPUTE_PGM_RSRC2:USER_SGPR: 6
; COMPUTE_PGM_RSRC2:TRAP_HANDLER: 0
; COMPUTE_PGM_RSRC2:TGID_X_EN: 1
; COMPUTE_PGM_RSRC2:TGID_Y_EN: 1
; COMPUTE_PGM_RSRC2:TGID_Z_EN: 0
; COMPUTE_PGM_RSRC2:TIDIG_COMP_CNT: 0
	.section	.text._ZN9rocsolver6v33100L38stedc_mergePrepare_DeflateCount_kernelIfEEviiPT_lS3_Pi,"axG",@progbits,_ZN9rocsolver6v33100L38stedc_mergePrepare_DeflateCount_kernelIfEEviiPT_lS3_Pi,comdat
	.globl	_ZN9rocsolver6v33100L38stedc_mergePrepare_DeflateCount_kernelIfEEviiPT_lS3_Pi ; -- Begin function _ZN9rocsolver6v33100L38stedc_mergePrepare_DeflateCount_kernelIfEEviiPT_lS3_Pi
	.p2align	8
	.type	_ZN9rocsolver6v33100L38stedc_mergePrepare_DeflateCount_kernelIfEEviiPT_lS3_Pi,@function
_ZN9rocsolver6v33100L38stedc_mergePrepare_DeflateCount_kernelIfEEviiPT_lS3_Pi: ; @_ZN9rocsolver6v33100L38stedc_mergePrepare_DeflateCount_kernelIfEEviiPT_lS3_Pi
; %bb.0:
	s_load_dword s12, s[4:5], 0x4
	s_load_dwordx4 s[8:11], s[4:5], 0x18
	s_load_dword s2, s[4:5], 0x34
	s_waitcnt lgkmcnt(0)
	s_mul_i32 s20, s12, s7
	s_mul_i32 s0, s20, 13
	s_ashr_i32 s1, s0, 31
	s_lshl_b64 s[14:15], s[0:1], 2
	s_add_u32 s3, s10, s14
	s_mul_i32 s0, s12, 9
	s_addc_u32 s4, s11, s15
	s_ashr_i32 s1, s0, 31
	s_lshl_b64 s[16:17], s[0:1], 2
	s_add_u32 s24, s3, s16
	s_addc_u32 s25, s4, s17
	s_ashr_i32 s13, s12, 31
	s_lshl_b64 s[18:19], s[12:13], 3
	s_add_u32 s21, s24, s18
	s_addc_u32 s22, s25, s19
	s_and_b32 s26, s2, 0xffff
	s_mul_i32 s13, s6, s26
	v_add_u32_e32 v1, s13, v0
	v_max_i32_e32 v2, 1, v1
	v_cmp_ge_i32_e32 vcc, s12, v2
	s_mov_b64 s[4:5], -1
	s_and_saveexec_b64 s[0:1], vcc
	s_cbranch_execz .LBB14_2
; %bb.1:
	v_mov_b32_e32 v3, 0
	v_lshlrev_b64 v[2:3], 2, v[2:3]
	v_mov_b32_e32 v4, s22
	v_add_co_u32_e32 v2, vcc, s21, v2
	v_addc_co_u32_e32 v3, vcc, v4, v3, vcc
	global_load_dword v2, v[2:3], off offset:-4
	s_waitcnt vmcnt(0)
	v_and_b32_e32 v2, 1, v2
	v_cmp_eq_u32_e32 vcc, 0, v2
	s_orn2_b64 s[4:5], vcc, exec
.LBB14_2:
	s_or_b64 exec, exec, s[0:1]
	v_cmp_le_i32_e32 vcc, s12, v1
	v_cmp_gt_i32_e64 s[0:1], s12, v1
	s_mov_b64 s[2:3], 0
	v_ashrrev_i32_e32 v2, 31, v1
	s_and_saveexec_b64 s[6:7], s[0:1]
	s_cbranch_execz .LBB14_4
; %bb.3:
	v_lshlrev_b64 v[3:4], 2, v[1:2]
	v_mov_b32_e32 v5, s22
	v_add_co_u32_e64 v3, s[2:3], s21, v3
	v_addc_co_u32_e64 v4, s[2:3], v5, v4, s[2:3]
	global_load_dword v3, v[3:4], off
	s_waitcnt vmcnt(0)
	v_and_b32_e32 v3, 1, v3
	v_cmp_eq_u32_e64 s[2:3], 1, v3
	s_and_b64 s[2:3], s[2:3], exec
.LBB14_4:
	s_or_b64 exec, exec, s[6:7]
	s_mul_i32 s6, s20, 10
	s_ashr_i32 s7, s6, 31
	s_lshl_b64 s[6:7], s[6:7], 2
	s_add_u32 s22, s8, s6
	s_mul_i32 s20, s12, 6
	s_addc_u32 s23, s9, s7
	s_ashr_i32 s21, s20, 31
	s_lshl_b64 s[20:21], s[20:21], 2
	s_add_u32 s27, s22, s20
	s_addc_u32 s28, s23, s21
	v_mov_b32_e32 v5, 0
	s_and_saveexec_b64 s[22:23], s[0:1]
	s_cbranch_execz .LBB14_6
; %bb.5:
	v_lshlrev_b64 v[3:4], 2, v[1:2]
	v_mov_b32_e32 v5, s28
	v_add_co_u32_e64 v3, s[0:1], s27, v3
	v_addc_co_u32_e64 v4, s[0:1], v5, v4, s[0:1]
	global_load_dword v5, v[3:4], off
.LBB14_6:
	s_or_b64 exec, exec, s[22:23]
	s_and_saveexec_b64 s[0:1], vcc
	s_xor_b64 s[0:1], exec, s[0:1]
	s_or_saveexec_b64 s[0:1], s[0:1]
	v_mov_b32_e32 v6, 0
	s_xor_b64 exec, exec, s[0:1]
	s_cbranch_execz .LBB14_8
; %bb.7:
	s_sub_u32 s22, 0, s18
	s_subb_u32 s23, 0, s19
	s_add_u32 s22, s27, s22
	v_lshlrev_b64 v[3:4], 2, v[1:2]
	s_addc_u32 s23, s28, s23
	v_mov_b32_e32 v6, s23
	v_add_co_u32_e32 v3, vcc, s22, v3
	v_addc_co_u32_e32 v4, vcc, v6, v4, vcc
	global_load_dword v6, v[3:4], off
.LBB14_8:
	s_or_b64 exec, exec, s[0:1]
	s_lshl_b32 s22, s26, 2
	s_add_u32 s0, s18, s14
	s_addc_u32 s1, s19, s15
	s_add_u32 s16, s0, s16
	s_addc_u32 s17, s1, s17
	s_add_u32 s0, s10, s16
	s_addc_u32 s1, s11, s17
	v_lshlrev_b64 v[8:9], 2, v[1:2]
	s_add_u32 s18, s6, s20
	s_addc_u32 s19, s7, s21
	v_mov_b32_e32 v4, s1
	v_add_co_u32_e32 v3, vcc, s0, v8
	s_add_u32 s0, s8, s18
	v_addc_co_u32_e32 v4, vcc, v4, v9, vcc
	s_addc_u32 s1, s9, s19
	v_lshlrev_b32_e32 v7, 2, v0
	v_mov_b32_e32 v10, s1
	v_add_co_u32_e32 v8, vcc, s0, v8
	v_addc_co_u32_e32 v9, vcc, v10, v9, vcc
	s_mov_b64 s[0:1], 0
	s_movk_i32 s20, 0xfff
	s_mov_b64 s[6:7], 0
	v_mov_b32_e32 v10, v7
	v_mov_b32_e32 v11, v0
	s_branch .LBB14_10
.LBB14_9:                               ;   in Loop: Header=BB14_10 Depth=1
	s_or_b64 exec, exec, s[14:15]
	v_add_u32_e32 v11, s26, v11
	s_add_u32 s6, s6, s22
	s_addc_u32 s7, s7, 0
	v_cmp_lt_u32_e32 vcc, s20, v11
	s_waitcnt vmcnt(0)
	ds_write2st64_b32 v10, v12, v13 offset1:64
	s_or_b64 s[0:1], vcc, s[0:1]
	v_add_u32_e32 v10, s22, v10
	s_andn2_b64 exec, exec, s[0:1]
	s_cbranch_execz .LBB14_12
.LBB14_10:                              ; =>This Inner Loop Header: Depth=1
	v_add_u32_e32 v12, s13, v11
	v_cmp_gt_i32_e32 vcc, s12, v12
	v_mov_b32_e32 v13, 0
	v_mov_b32_e32 v12, 0
	s_and_saveexec_b64 s[14:15], vcc
	s_cbranch_execz .LBB14_9
; %bb.11:                               ;   in Loop: Header=BB14_10 Depth=1
	v_mov_b32_e32 v14, s7
	v_add_co_u32_e32 v12, vcc, s6, v8
	v_addc_co_u32_e32 v13, vcc, v9, v14, vcc
	global_load_dword v12, v[12:13], off
	v_add_co_u32_e32 v13, vcc, s6, v3
	v_addc_co_u32_e32 v14, vcc, v4, v14, vcc
	global_load_dword v13, v[13:14], off
	s_branch .LBB14_9
.LBB14_12:
	s_or_b64 exec, exec, s[0:1]
	v_cmp_eq_u32_e32 vcc, 0, v1
	s_or_b64 s[0:1], vcc, s[4:5]
	s_and_b64 s[0:1], s[2:3], s[0:1]
	s_waitcnt lgkmcnt(0)
	s_barrier
	s_and_saveexec_b64 s[2:3], s[0:1]
	s_cbranch_execz .LBB14_20
; %bb.13:
	v_lshlrev_b32_e32 v3, 2, v0
	ds_read_b32 v4, v3 offset:16392
	v_add_u32_e32 v3, 2, v1
	v_cmp_gt_i32_e32 vcc, s12, v3
	s_waitcnt lgkmcnt(0)
	v_and_b32_e32 v4, 2, v4
	v_cmp_ne_u32_e64 s[0:1], 0, v4
	s_and_b64 s[0:1], vcc, s[0:1]
	s_and_saveexec_b64 s[2:3], s[0:1]
	s_cbranch_execz .LBB14_19
; %bb.14:
	s_mov_b64 s[0:1], src_shared_base
	v_ashrrev_i32_e32 v4, 31, v3
	v_lshlrev_b64 v[8:9], 2, v[3:4]
	s_add_u32 s0, s10, s16
	s_addc_u32 s4, s11, s17
	v_mov_b32_e32 v2, s4
	v_add_co_u32_e32 v3, vcc, s0, v8
	v_addc_co_u32_e32 v2, vcc, v2, v9, vcc
	v_add_co_u32_e32 v3, vcc, 4, v3
	s_add_u32 s0, s8, s18
	v_addc_co_u32_e32 v4, vcc, 0, v2, vcc
	s_addc_u32 s4, s9, s19
	v_mov_b32_e32 v2, s4
	v_add_co_u32_e32 v8, vcc, s0, v8
	v_addc_co_u32_e32 v9, vcc, v2, v9, vcc
	v_add_u32_e32 v7, 0x400c, v7
	s_mov_b64 s[4:5], 0
	s_movk_i32 s6, 0x1000
	v_mov_b32_e32 v10, s1
	s_branch .LBB14_16
.LBB14_15:                              ;   in Loop: Header=BB14_16 Depth=1
	s_or_b64 exec, exec, s[0:1]
	v_add_u32_e32 v2, 3, v0
	v_cmp_gt_i32_e32 vcc, s6, v2
	v_cndmask_b32_e32 v13, v4, v10, vcc
	v_cndmask_b32_e32 v12, v3, v7, vcc
	flat_load_dword v2, v[12:13]
	v_add_co_u32_e32 v8, vcc, 4, v8
	v_add_co_u32_e64 v3, s[0:1], 4, v3
	v_add_u32_e32 v11, 3, v11
	v_addc_co_u32_e32 v9, vcc, 0, v9, vcc
	v_addc_co_u32_e64 v4, s[0:1], 0, v4, s[0:1]
	v_cmp_le_i32_e32 vcc, s12, v11
	v_add_u32_e32 v0, 1, v0
	v_add_u32_e32 v7, 4, v7
	s_waitcnt vmcnt(0) lgkmcnt(0)
	v_and_b32_e32 v2, 2, v2
	v_cmp_eq_u32_e64 s[0:1], 0, v2
	s_or_b64 s[0:1], vcc, s[0:1]
	s_and_b64 s[0:1], exec, s[0:1]
	s_or_b64 s[4:5], s[0:1], s[4:5]
	s_andn2_b64 exec, exec, s[4:5]
	s_cbranch_execz .LBB14_18
.LBB14_16:                              ; =>This Inner Loop Header: Depth=1
	v_add_u32_e32 v2, 2, v0
	v_add_u32_e32 v11, 0xffffbffc, v7
	v_cmp_gt_i32_e32 vcc, s6, v2
	v_cndmask_b32_e32 v11, v8, v11, vcc
	v_cndmask_b32_e32 v12, v9, v10, vcc
	flat_load_dword v12, v[11:12]
	v_add_u32_e32 v11, s13, v0
	s_waitcnt vmcnt(0) lgkmcnt(0)
	v_sub_f32_e32 v2, v12, v5
	v_cmp_gt_f32_e32 vcc, v2, v6
	s_and_saveexec_b64 s[0:1], vcc
	s_cbranch_execz .LBB14_15
; %bb.17:                               ;   in Loop: Header=BB14_16 Depth=1
	v_ashrrev_i32_e32 v2, 31, v1
	v_lshlrev_b64 v[13:14], 2, v[1:2]
	v_mov_b32_e32 v2, s25
	v_add_co_u32_e32 v13, vcc, s24, v13
	v_sub_u32_e32 v1, v11, v1
	v_add_u32_e32 v15, 2, v11
	v_addc_co_u32_e32 v14, vcc, v2, v14, vcc
	v_add_u32_e32 v1, 1, v1
	global_store_dword v[13:14], v1, off
	v_mov_b32_e32 v5, v12
	v_mov_b32_e32 v1, v15
	s_branch .LBB14_15
.LBB14_18:
	s_or_b64 exec, exec, s[4:5]
	v_add3_u32 v3, s13, v0, 2
	v_ashrrev_i32_e32 v2, 31, v1
.LBB14_19:
	s_or_b64 exec, exec, s[2:3]
	v_xad_u32 v3, v1, -1, v3
	v_lshlrev_b64 v[0:1], 2, v[1:2]
	v_mov_b32_e32 v2, s25
	v_add_co_u32_e32 v0, vcc, s24, v0
	v_addc_co_u32_e32 v1, vcc, v2, v1, vcc
	global_store_dword v[0:1], v3, off
.LBB14_20:
	s_endpgm
	.section	.rodata,"a",@progbits
	.p2align	6, 0x0
	.amdhsa_kernel _ZN9rocsolver6v33100L38stedc_mergePrepare_DeflateCount_kernelIfEEviiPT_lS3_Pi
		.amdhsa_group_segment_fixed_size 32768
		.amdhsa_private_segment_fixed_size 0
		.amdhsa_kernarg_size 296
		.amdhsa_user_sgpr_count 6
		.amdhsa_user_sgpr_private_segment_buffer 1
		.amdhsa_user_sgpr_dispatch_ptr 0
		.amdhsa_user_sgpr_queue_ptr 0
		.amdhsa_user_sgpr_kernarg_segment_ptr 1
		.amdhsa_user_sgpr_dispatch_id 0
		.amdhsa_user_sgpr_flat_scratch_init 0
		.amdhsa_user_sgpr_private_segment_size 0
		.amdhsa_uses_dynamic_stack 0
		.amdhsa_system_sgpr_private_segment_wavefront_offset 0
		.amdhsa_system_sgpr_workgroup_id_x 1
		.amdhsa_system_sgpr_workgroup_id_y 1
		.amdhsa_system_sgpr_workgroup_id_z 0
		.amdhsa_system_sgpr_workgroup_info 0
		.amdhsa_system_vgpr_workitem_id 0
		.amdhsa_next_free_vgpr 49
		.amdhsa_next_free_sgpr 98
		.amdhsa_reserve_vcc 1
		.amdhsa_reserve_flat_scratch 0
		.amdhsa_float_round_mode_32 0
		.amdhsa_float_round_mode_16_64 0
		.amdhsa_float_denorm_mode_32 3
		.amdhsa_float_denorm_mode_16_64 3
		.amdhsa_dx10_clamp 1
		.amdhsa_ieee_mode 1
		.amdhsa_fp16_overflow 0
		.amdhsa_exception_fp_ieee_invalid_op 0
		.amdhsa_exception_fp_denorm_src 0
		.amdhsa_exception_fp_ieee_div_zero 0
		.amdhsa_exception_fp_ieee_overflow 0
		.amdhsa_exception_fp_ieee_underflow 0
		.amdhsa_exception_fp_ieee_inexact 0
		.amdhsa_exception_int_div_zero 0
	.end_amdhsa_kernel
	.section	.text._ZN9rocsolver6v33100L38stedc_mergePrepare_DeflateCount_kernelIfEEviiPT_lS3_Pi,"axG",@progbits,_ZN9rocsolver6v33100L38stedc_mergePrepare_DeflateCount_kernelIfEEviiPT_lS3_Pi,comdat
.Lfunc_end14:
	.size	_ZN9rocsolver6v33100L38stedc_mergePrepare_DeflateCount_kernelIfEEviiPT_lS3_Pi, .Lfunc_end14-_ZN9rocsolver6v33100L38stedc_mergePrepare_DeflateCount_kernelIfEEviiPT_lS3_Pi
                                        ; -- End function
	.set _ZN9rocsolver6v33100L38stedc_mergePrepare_DeflateCount_kernelIfEEviiPT_lS3_Pi.num_vgpr, 16
	.set _ZN9rocsolver6v33100L38stedc_mergePrepare_DeflateCount_kernelIfEEviiPT_lS3_Pi.num_agpr, 0
	.set _ZN9rocsolver6v33100L38stedc_mergePrepare_DeflateCount_kernelIfEEviiPT_lS3_Pi.numbered_sgpr, 29
	.set _ZN9rocsolver6v33100L38stedc_mergePrepare_DeflateCount_kernelIfEEviiPT_lS3_Pi.num_named_barrier, 0
	.set _ZN9rocsolver6v33100L38stedc_mergePrepare_DeflateCount_kernelIfEEviiPT_lS3_Pi.private_seg_size, 0
	.set _ZN9rocsolver6v33100L38stedc_mergePrepare_DeflateCount_kernelIfEEviiPT_lS3_Pi.uses_vcc, 1
	.set _ZN9rocsolver6v33100L38stedc_mergePrepare_DeflateCount_kernelIfEEviiPT_lS3_Pi.uses_flat_scratch, 0
	.set _ZN9rocsolver6v33100L38stedc_mergePrepare_DeflateCount_kernelIfEEviiPT_lS3_Pi.has_dyn_sized_stack, 0
	.set _ZN9rocsolver6v33100L38stedc_mergePrepare_DeflateCount_kernelIfEEviiPT_lS3_Pi.has_recursion, 0
	.set _ZN9rocsolver6v33100L38stedc_mergePrepare_DeflateCount_kernelIfEEviiPT_lS3_Pi.has_indirect_call, 0
	.section	.AMDGPU.csdata,"",@progbits
; Kernel info:
; codeLenInByte = 1088
; TotalNumSgprs: 33
; NumVgprs: 16
; ScratchSize: 0
; MemoryBound: 0
; FloatMode: 240
; IeeeMode: 1
; LDSByteSize: 32768 bytes/workgroup (compile time only)
; SGPRBlocks: 12
; VGPRBlocks: 12
; NumSGPRsForWavesPerEU: 102
; NumVGPRsForWavesPerEU: 49
; Occupancy: 4
; WaveLimiterHint : 0
; COMPUTE_PGM_RSRC2:SCRATCH_EN: 0
; COMPUTE_PGM_RSRC2:USER_SGPR: 6
; COMPUTE_PGM_RSRC2:TRAP_HANDLER: 0
; COMPUTE_PGM_RSRC2:TGID_X_EN: 1
; COMPUTE_PGM_RSRC2:TGID_Y_EN: 1
; COMPUTE_PGM_RSRC2:TGID_Z_EN: 0
; COMPUTE_PGM_RSRC2:TIDIG_COMP_CNT: 0
	.section	.text._ZN9rocsolver6v33100L38stedc_mergePrepare_DeflateApply_kernelIfEEviiPT_lS3_Pi,"axG",@progbits,_ZN9rocsolver6v33100L38stedc_mergePrepare_DeflateApply_kernelIfEEviiPT_lS3_Pi,comdat
	.globl	_ZN9rocsolver6v33100L38stedc_mergePrepare_DeflateApply_kernelIfEEviiPT_lS3_Pi ; -- Begin function _ZN9rocsolver6v33100L38stedc_mergePrepare_DeflateApply_kernelIfEEviiPT_lS3_Pi
	.p2align	8
	.type	_ZN9rocsolver6v33100L38stedc_mergePrepare_DeflateApply_kernelIfEEviiPT_lS3_Pi,@function
_ZN9rocsolver6v33100L38stedc_mergePrepare_DeflateApply_kernelIfEEviiPT_lS3_Pi: ; @_ZN9rocsolver6v33100L38stedc_mergePrepare_DeflateApply_kernelIfEEviiPT_lS3_Pi
; %bb.0:
	s_load_dword s8, s[4:5], 0x4
	s_load_dwordx4 s[0:3], s[4:5], 0x18
	s_load_dword s18, s[4:5], 0x34
	s_waitcnt lgkmcnt(0)
	s_mul_i32 s19, s7, s8
	s_mul_i32 s4, s19, 13
	s_ashr_i32 s5, s4, 31
	s_lshl_b64 s[10:11], s[4:5], 2
	s_add_u32 s7, s2, s10
	s_addc_u32 s9, s3, s11
	s_lshl_b32 s4, s8, 3
	s_ashr_i32 s5, s4, 31
	s_lshl_b64 s[12:13], s[4:5], 2
	s_add_u32 s16, s7, s12
	s_addc_u32 s21, s9, s13
	s_ashr_i32 s9, s8, 31
	s_lshl_b64 s[14:15], s[8:9], 3
	s_add_u32 s17, s16, s14
	s_addc_u32 s22, s21, s15
	s_and_b32 s23, s18, 0xffff
	s_mul_i32 s18, s6, s23
	v_add_u32_e32 v1, s18, v0
	v_cmp_le_i32_e32 vcc, s8, v1
	v_ashrrev_i32_e32 v2, 31, v1
	s_and_saveexec_b64 s[4:5], vcc
	s_xor_b64 s[4:5], exec, s[4:5]
	s_or_saveexec_b64 s[6:7], s[4:5]
	s_lshl_b64 s[4:5], s[8:9], 2
	v_mov_b32_e32 v5, 0
	s_xor_b64 exec, exec, s[6:7]
	s_cbranch_execz .LBB15_2
; %bb.1:
	s_sub_u32 s9, 0, s4
	s_subb_u32 s20, 0, s5
	s_add_u32 s9, s17, s9
	v_lshlrev_b64 v[3:4], 2, v[1:2]
	s_addc_u32 s20, s22, s20
	v_mov_b32_e32 v5, s20
	v_add_co_u32_e32 v3, vcc, s9, v3
	v_addc_co_u32_e32 v4, vcc, v5, v4, vcc
	global_load_dword v5, v[3:4], off
.LBB15_2:
	s_or_b64 exec, exec, s[6:7]
	s_mul_i32 s6, s19, 10
	s_ashr_i32 s7, s6, 31
	s_lshl_b64 s[6:7], s[6:7], 2
	s_add_u32 s19, s0, s6
	s_addc_u32 s20, s1, s7
	s_lshl_b32 s6, s23, 2
	s_add_u32 s0, s14, s10
	s_addc_u32 s1, s15, s11
	s_add_u32 s0, s0, s12
	s_addc_u32 s1, s1, s13
	v_lshlrev_b64 v[1:2], 2, v[1:2]
	s_add_u32 s0, s2, s0
	s_addc_u32 s1, s3, s1
	v_lshlrev_b32_e32 v7, 2, v0
	v_mov_b32_e32 v3, s1
	v_add_co_u32_e32 v1, vcc, s0, v1
	v_addc_co_u32_e32 v2, vcc, v3, v2, vcc
	s_mov_b64 s[0:1], 0
	s_movk_i32 s7, 0xfff
	v_mov_b32_e32 v6, v7
	v_mov_b32_e32 v8, v0
	s_branch .LBB15_4
.LBB15_3:                               ;   in Loop: Header=BB15_4 Depth=1
	s_or_b64 exec, exec, s[2:3]
	v_add_u32_e32 v8, s23, v8
	v_cmp_lt_u32_e32 vcc, s7, v8
	s_or_b64 s[0:1], vcc, s[0:1]
	v_add_co_u32_e32 v1, vcc, s6, v1
	s_waitcnt vmcnt(0)
	ds_write2st64_b32 v6, v4, v3 offset1:64
	v_add_u32_e32 v6, s6, v6
	v_addc_co_u32_e32 v2, vcc, 0, v2, vcc
	s_andn2_b64 exec, exec, s[0:1]
	s_cbranch_execz .LBB15_6
.LBB15_4:                               ; =>This Inner Loop Header: Depth=1
	v_add_u32_e32 v3, s18, v8
	v_cmp_gt_i32_e32 vcc, s8, v3
	v_mov_b32_e32 v4, 0
	v_mov_b32_e32 v3, 0
	s_and_saveexec_b64 s[2:3], vcc
	s_cbranch_execz .LBB15_3
; %bb.5:                                ;   in Loop: Header=BB15_4 Depth=1
	global_load_dword v3, v[1:2], off
	v_mov_b32_e32 v11, s20
	s_waitcnt vmcnt(0)
	v_ashrrev_i32_e32 v4, 31, v3
	v_lshlrev_b64 v[9:10], 2, v[3:4]
	v_add_co_u32_e32 v9, vcc, s19, v9
	v_addc_co_u32_e32 v10, vcc, v11, v10, vcc
	global_load_dword v4, v[9:10], off
	s_branch .LBB15_3
.LBB15_6:
	s_or_b64 exec, exec, s[0:1]
	v_cmp_ne_u32_e32 vcc, 0, v5
	s_waitcnt lgkmcnt(0)
	s_barrier
	s_and_saveexec_b64 s[0:1], vcc
	s_cbranch_execz .LBB15_22
; %bb.7:
	v_lshlrev_b32_e32 v4, 2, v0
	ds_read_b32 v6, v4
	v_cmp_lt_i32_e32 vcc, 0, v5
	s_and_saveexec_b64 s[2:3], vcc
	s_cbranch_execz .LBB15_21
; %bb.8:
	s_lshl_b32 s6, s8, 1
	s_ashr_i32 s7, s6, 31
	s_lshl_b64 s[6:7], s[6:7], 2
	s_mov_b64 s[0:1], src_shared_base
	s_add_u32 s12, s19, s6
	s_addc_u32 s0, s20, s7
	s_add_u32 s13, s12, s4
	s_addc_u32 s6, s0, s5
	v_add_u32_e32 v7, 0x4004, v7
	v_add_u32_e32 v8, 1, v0
	s_mov_b64 s[4:5], 0
	s_movk_i32 s14, 0x1000
	v_mov_b32_e32 v9, s22
	v_mov_b32_e32 v10, s1
	v_mov_b32_e32 v11, s20
	s_mov_b32 s15, 0xf800000
	v_mov_b32_e32 v12, 0x260
	v_mov_b32_e32 v13, s21
	;; [unrolled: 1-line block ×5, first 2 shown]
	s_branch .LBB15_11
.LBB15_9:                               ;   in Loop: Header=BB15_11 Depth=1
	s_or_b64 exec, exec, s[0:1]
	v_mov_b32_e32 v6, v20
.LBB15_10:                              ;   in Loop: Header=BB15_11 Depth=1
	s_or_b64 exec, exec, s[6:7]
	v_add_co_u32_e32 v20, vcc, s16, v0
	v_addc_co_u32_e32 v21, vcc, v13, v1, vcc
	global_store_dword v[20:21], v14, off
	global_store_dword v[2:3], v14, off
	v_add_co_u32_e32 v2, vcc, s12, v0
	v_addc_co_u32_e32 v3, vcc, v15, v1, vcc
	v_add_co_u32_e32 v0, vcc, s13, v0
	v_addc_co_u32_e32 v1, vcc, v16, v1, vcc
	v_add_u32_e32 v5, -1, v5
	v_cmp_eq_u32_e32 vcc, 0, v5
	v_add_u32_e32 v7, 4, v7
	s_or_b64 s[4:5], vcc, s[4:5]
	v_add_u32_e32 v8, 1, v8
	global_store_dword v[2:3], v19, off
	global_store_dword v[0:1], v18, off
	s_andn2_b64 exec, exec, s[4:5]
	s_cbranch_execz .LBB15_20
.LBB15_11:                              ; =>This Inner Loop Header: Depth=1
	v_add_u32_e32 v0, s18, v8
	v_ashrrev_i32_e32 v1, 31, v0
	v_lshlrev_b64 v[0:1], 2, v[0:1]
	v_add_u32_e32 v17, 0xffffc000, v7
	v_add_co_u32_e32 v0, vcc, s17, v0
	v_addc_co_u32_e32 v1, vcc, v9, v1, vcc
	v_cmp_gt_i32_e32 vcc, s14, v8
	v_cndmask_b32_e32 v1, v1, v10, vcc
	v_cndmask_b32_e32 v0, v0, v7, vcc
	flat_load_dword v0, v[0:1]
	v_mov_b32_e32 v19, 1.0
	s_waitcnt vmcnt(0) lgkmcnt(0)
	v_ashrrev_i32_e32 v1, 31, v0
	v_lshlrev_b64 v[0:1], 2, v[0:1]
	v_add_co_u32_e64 v2, s[0:1], s19, v0
	v_addc_co_u32_e64 v3, s[0:1], v11, v1, s[0:1]
	v_cndmask_b32_e32 v18, v3, v10, vcc
	v_cndmask_b32_e32 v17, v2, v17, vcc
	flat_load_dword v17, v[17:18]
	v_mov_b32_e32 v18, 0
	s_waitcnt vmcnt(0) lgkmcnt(0)
	v_cmp_neq_f32_e32 vcc, 0, v17
	s_and_saveexec_b64 s[6:7], vcc
	s_cbranch_execz .LBB15_10
; %bb.12:                               ;   in Loop: Header=BB15_11 Depth=1
	v_cmp_neq_f32_e32 vcc, 0, v6
	v_xor_b32_e32 v20, 0x80000000, v17
                                        ; implicit-def: $vgpr19
                                        ; implicit-def: $vgpr18
	s_and_saveexec_b64 s[0:1], vcc
	s_xor_b64 s[8:9], exec, s[0:1]
	s_cbranch_execz .LBB15_18
; %bb.13:                               ;   in Loop: Header=BB15_11 Depth=1
	v_cmp_ngt_f32_e64 s[0:1], |v17|, |v6|
                                        ; implicit-def: $vgpr19
                                        ; implicit-def: $vgpr18
	s_and_saveexec_b64 s[10:11], s[0:1]
	s_xor_b64 s[10:11], exec, s[10:11]
	s_cbranch_execz .LBB15_15
; %bb.14:                               ;   in Loop: Header=BB15_11 Depth=1
	v_div_scale_f32 v18, s[0:1], v6, v6, -v17
	v_div_scale_f32 v19, vcc, -v17, v6, -v17
	v_rcp_f32_e32 v20, v18
	v_fma_f32 v21, -v18, v20, 1.0
	v_fmac_f32_e32 v20, v21, v20
	v_mul_f32_e32 v21, v19, v20
	v_fma_f32 v22, -v18, v21, v19
	v_fmac_f32_e32 v21, v22, v20
	v_fma_f32 v18, -v18, v21, v19
	v_div_fmas_f32 v18, v18, v20, v21
	v_div_fixup_f32 v18, v18, v6, -v17
	v_fma_f32 v19, v18, v18, 1.0
	v_mul_f32_e32 v20, 0x4f800000, v19
	v_cmp_gt_f32_e32 vcc, s15, v19
	v_cndmask_b32_e32 v19, v19, v20, vcc
	v_sqrt_f32_e32 v20, v19
	v_add_u32_e32 v21, -1, v20
	v_add_u32_e32 v22, 1, v20
	v_fma_f32 v23, -v21, v20, v19
	v_fma_f32 v24, -v22, v20, v19
	v_cmp_ge_f32_e64 s[0:1], 0, v23
	v_cndmask_b32_e64 v20, v20, v21, s[0:1]
	v_cmp_lt_f32_e64 s[0:1], 0, v24
	v_cndmask_b32_e64 v20, v20, v22, s[0:1]
	v_mul_f32_e32 v21, 0x37800000, v20
	v_cndmask_b32_e32 v20, v20, v21, vcc
	v_cmp_class_f32_e32 vcc, v19, v12
	v_cndmask_b32_e32 v19, v20, v19, vcc
	v_div_scale_f32 v20, s[0:1], v19, v19, 1.0
	v_div_scale_f32 v21, vcc, 1.0, v19, 1.0
	v_rcp_f32_e32 v22, v20
	v_fma_f32 v23, -v20, v22, 1.0
	v_fmac_f32_e32 v22, v23, v22
	v_mul_f32_e32 v23, v21, v22
	v_fma_f32 v24, -v20, v23, v21
	v_fmac_f32_e32 v23, v24, v22
	v_fma_f32 v20, -v20, v23, v21
	v_div_fmas_f32 v20, v20, v22, v23
	v_div_fixup_f32 v19, v20, v19, 1.0
	v_mul_f32_e32 v18, v18, v19
.LBB15_15:                              ;   in Loop: Header=BB15_11 Depth=1
	s_andn2_saveexec_b64 s[10:11], s[10:11]
	s_cbranch_execz .LBB15_17
; %bb.16:                               ;   in Loop: Header=BB15_11 Depth=1
	v_div_scale_f32 v18, s[0:1], v17, v17, -v6
	v_div_scale_f32 v19, vcc, -v6, v17, -v6
	v_rcp_f32_e32 v20, v18
	v_fma_f32 v21, -v18, v20, 1.0
	v_fmac_f32_e32 v20, v21, v20
	v_mul_f32_e32 v21, v19, v20
	v_fma_f32 v22, -v18, v21, v19
	v_fmac_f32_e32 v21, v22, v20
	v_fma_f32 v18, -v18, v21, v19
	v_div_fmas_f32 v18, v18, v20, v21
	v_div_fixup_f32 v19, v18, v17, -v6
	v_fma_f32 v18, v19, v19, 1.0
	v_mul_f32_e32 v20, 0x4f800000, v18
	v_cmp_gt_f32_e32 vcc, s15, v18
	v_cndmask_b32_e32 v18, v18, v20, vcc
	v_sqrt_f32_e32 v20, v18
	v_add_u32_e32 v21, -1, v20
	v_add_u32_e32 v22, 1, v20
	v_fma_f32 v23, -v21, v20, v18
	v_fma_f32 v24, -v22, v20, v18
	v_cmp_ge_f32_e64 s[0:1], 0, v23
	v_cndmask_b32_e64 v20, v20, v21, s[0:1]
	v_cmp_lt_f32_e64 s[0:1], 0, v24
	v_cndmask_b32_e64 v20, v20, v22, s[0:1]
	v_mul_f32_e32 v21, 0x37800000, v20
	v_cndmask_b32_e32 v20, v20, v21, vcc
	v_cmp_class_f32_e32 vcc, v18, v12
	v_cndmask_b32_e32 v18, v20, v18, vcc
	v_div_scale_f32 v20, s[0:1], v18, v18, 1.0
	v_div_scale_f32 v21, vcc, 1.0, v18, 1.0
	v_rcp_f32_e32 v22, v20
	v_fma_f32 v23, -v20, v22, 1.0
	v_fmac_f32_e32 v22, v23, v22
	v_mul_f32_e32 v23, v21, v22
	v_fma_f32 v24, -v20, v23, v21
	v_fmac_f32_e32 v23, v24, v22
	v_fma_f32 v20, -v20, v23, v21
	v_div_fmas_f32 v20, v20, v22, v23
	v_div_fixup_f32 v18, v20, v18, 1.0
	v_mul_f32_e32 v19, v19, v18
.LBB15_17:                              ;   in Loop: Header=BB15_11 Depth=1
	s_or_b64 exec, exec, s[10:11]
	v_mul_f32_e32 v17, v17, v18
	v_fma_f32 v20, v6, v19, -v17
.LBB15_18:                              ;   in Loop: Header=BB15_11 Depth=1
	s_andn2_saveexec_b64 s[0:1], s[8:9]
	s_cbranch_execz .LBB15_9
; %bb.19:                               ;   in Loop: Header=BB15_11 Depth=1
	v_mov_b32_e32 v18, 1.0
	v_mov_b32_e32 v19, 0
	s_branch .LBB15_9
.LBB15_20:
	s_or_b64 exec, exec, s[4:5]
.LBB15_21:
	s_or_b64 exec, exec, s[2:3]
	ds_read_b32 v0, v4 offset:16384
	v_mov_b32_e32 v2, s20
	s_waitcnt lgkmcnt(0)
	v_ashrrev_i32_e32 v1, 31, v0
	v_lshlrev_b64 v[0:1], 2, v[0:1]
	v_add_co_u32_e32 v0, vcc, s19, v0
	v_addc_co_u32_e32 v1, vcc, v2, v1, vcc
	global_store_dword v[0:1], v6, off
.LBB15_22:
	s_endpgm
	.section	.rodata,"a",@progbits
	.p2align	6, 0x0
	.amdhsa_kernel _ZN9rocsolver6v33100L38stedc_mergePrepare_DeflateApply_kernelIfEEviiPT_lS3_Pi
		.amdhsa_group_segment_fixed_size 32768
		.amdhsa_private_segment_fixed_size 0
		.amdhsa_kernarg_size 296
		.amdhsa_user_sgpr_count 6
		.amdhsa_user_sgpr_private_segment_buffer 1
		.amdhsa_user_sgpr_dispatch_ptr 0
		.amdhsa_user_sgpr_queue_ptr 0
		.amdhsa_user_sgpr_kernarg_segment_ptr 1
		.amdhsa_user_sgpr_dispatch_id 0
		.amdhsa_user_sgpr_flat_scratch_init 0
		.amdhsa_user_sgpr_private_segment_size 0
		.amdhsa_uses_dynamic_stack 0
		.amdhsa_system_sgpr_private_segment_wavefront_offset 0
		.amdhsa_system_sgpr_workgroup_id_x 1
		.amdhsa_system_sgpr_workgroup_id_y 1
		.amdhsa_system_sgpr_workgroup_id_z 0
		.amdhsa_system_sgpr_workgroup_info 0
		.amdhsa_system_vgpr_workitem_id 0
		.amdhsa_next_free_vgpr 49
		.amdhsa_next_free_sgpr 98
		.amdhsa_reserve_vcc 1
		.amdhsa_reserve_flat_scratch 0
		.amdhsa_float_round_mode_32 0
		.amdhsa_float_round_mode_16_64 0
		.amdhsa_float_denorm_mode_32 3
		.amdhsa_float_denorm_mode_16_64 3
		.amdhsa_dx10_clamp 1
		.amdhsa_ieee_mode 1
		.amdhsa_fp16_overflow 0
		.amdhsa_exception_fp_ieee_invalid_op 0
		.amdhsa_exception_fp_denorm_src 0
		.amdhsa_exception_fp_ieee_div_zero 0
		.amdhsa_exception_fp_ieee_overflow 0
		.amdhsa_exception_fp_ieee_underflow 0
		.amdhsa_exception_fp_ieee_inexact 0
		.amdhsa_exception_int_div_zero 0
	.end_amdhsa_kernel
	.section	.text._ZN9rocsolver6v33100L38stedc_mergePrepare_DeflateApply_kernelIfEEviiPT_lS3_Pi,"axG",@progbits,_ZN9rocsolver6v33100L38stedc_mergePrepare_DeflateApply_kernelIfEEviiPT_lS3_Pi,comdat
.Lfunc_end15:
	.size	_ZN9rocsolver6v33100L38stedc_mergePrepare_DeflateApply_kernelIfEEviiPT_lS3_Pi, .Lfunc_end15-_ZN9rocsolver6v33100L38stedc_mergePrepare_DeflateApply_kernelIfEEviiPT_lS3_Pi
                                        ; -- End function
	.set _ZN9rocsolver6v33100L38stedc_mergePrepare_DeflateApply_kernelIfEEviiPT_lS3_Pi.num_vgpr, 25
	.set _ZN9rocsolver6v33100L38stedc_mergePrepare_DeflateApply_kernelIfEEviiPT_lS3_Pi.num_agpr, 0
	.set _ZN9rocsolver6v33100L38stedc_mergePrepare_DeflateApply_kernelIfEEviiPT_lS3_Pi.numbered_sgpr, 24
	.set _ZN9rocsolver6v33100L38stedc_mergePrepare_DeflateApply_kernelIfEEviiPT_lS3_Pi.num_named_barrier, 0
	.set _ZN9rocsolver6v33100L38stedc_mergePrepare_DeflateApply_kernelIfEEviiPT_lS3_Pi.private_seg_size, 0
	.set _ZN9rocsolver6v33100L38stedc_mergePrepare_DeflateApply_kernelIfEEviiPT_lS3_Pi.uses_vcc, 1
	.set _ZN9rocsolver6v33100L38stedc_mergePrepare_DeflateApply_kernelIfEEviiPT_lS3_Pi.uses_flat_scratch, 0
	.set _ZN9rocsolver6v33100L38stedc_mergePrepare_DeflateApply_kernelIfEEviiPT_lS3_Pi.has_dyn_sized_stack, 0
	.set _ZN9rocsolver6v33100L38stedc_mergePrepare_DeflateApply_kernelIfEEviiPT_lS3_Pi.has_recursion, 0
	.set _ZN9rocsolver6v33100L38stedc_mergePrepare_DeflateApply_kernelIfEEviiPT_lS3_Pi.has_indirect_call, 0
	.section	.AMDGPU.csdata,"",@progbits
; Kernel info:
; codeLenInByte = 1416
; TotalNumSgprs: 28
; NumVgprs: 25
; ScratchSize: 0
; MemoryBound: 0
; FloatMode: 240
; IeeeMode: 1
; LDSByteSize: 32768 bytes/workgroup (compile time only)
; SGPRBlocks: 12
; VGPRBlocks: 12
; NumSGPRsForWavesPerEU: 102
; NumVGPRsForWavesPerEU: 49
; Occupancy: 4
; WaveLimiterHint : 1
; COMPUTE_PGM_RSRC2:SCRATCH_EN: 0
; COMPUTE_PGM_RSRC2:USER_SGPR: 6
; COMPUTE_PGM_RSRC2:TRAP_HANDLER: 0
; COMPUTE_PGM_RSRC2:TGID_X_EN: 1
; COMPUTE_PGM_RSRC2:TGID_Y_EN: 1
; COMPUTE_PGM_RSRC2:TGID_Z_EN: 0
; COMPUTE_PGM_RSRC2:TIDIG_COMP_CNT: 0
	.section	.text._ZN9rocsolver6v33100L24stedc_mergeRotate_kernelIfEEviiPT_iilS3_Pi,"axG",@progbits,_ZN9rocsolver6v33100L24stedc_mergeRotate_kernelIfEEviiPT_iilS3_Pi,comdat
	.globl	_ZN9rocsolver6v33100L24stedc_mergeRotate_kernelIfEEviiPT_iilS3_Pi ; -- Begin function _ZN9rocsolver6v33100L24stedc_mergeRotate_kernelIfEEviiPT_iilS3_Pi
	.p2align	8
	.type	_ZN9rocsolver6v33100L24stedc_mergeRotate_kernelIfEEviiPT_iilS3_Pi,@function
_ZN9rocsolver6v33100L24stedc_mergeRotate_kernelIfEEviiPT_iilS3_Pi: ; @_ZN9rocsolver6v33100L24stedc_mergeRotate_kernelIfEEviiPT_iilS3_Pi
; %bb.0:
	s_load_dword s34, s[4:5], 0x4
	s_load_dwordx2 s[2:3], s[4:5], 0x28
	s_load_dword s1, s[4:5], 0x3c
	s_mov_b32 s0, s6
	s_waitcnt lgkmcnt(0)
	s_mul_i32 s6, s7, s34
	s_mul_i32 s8, s6, 13
	s_ashr_i32 s9, s8, 31
	s_ashr_i32 s35, s34, 31
	s_lshl_b64 s[8:9], s[8:9], 2
	s_add_u32 s6, s2, s8
	s_mul_i32 s14, s34, 10
	s_addc_u32 s12, s3, s9
	s_ashr_i32 s15, s14, 31
	s_lshl_b64 s[10:11], s[14:15], 2
	s_add_u32 s6, s6, s10
	s_addc_u32 s15, s12, s11
	s_lshl_b64 s[12:13], s[34:35], 2
	s_sub_u32 s16, 0, s12
	s_subb_u32 s17, 0, s13
	s_add_u32 s16, s6, s16
	s_addc_u32 s17, s15, s17
	s_and_b32 s33, s1, 0xffff
	s_lshl_b32 s35, s33, 4
	v_cvt_f32_u32_e32 v1, s35
	s_ashr_i32 s1, s0, 31
	s_lshl_b64 s[0:1], s[0:1], 2
	s_add_u32 s16, s16, s0
	v_rcp_iflag_f32_e32 v1, v1
	s_addc_u32 s17, s17, s1
	s_load_dword s46, s[16:17], 0x0
	v_mul_f32_e32 v1, 0x4f7ffffe, v1
	v_cvt_u32_f32_e32 v1, v1
	s_waitcnt lgkmcnt(0)
	s_cmp_eq_u32 s46, 0
	v_readfirstlane_b32 s16, v1
	s_cbranch_scc1 .LBB16_136
; %bb.1:
	s_sub_i32 s19, 0, s35
	s_mul_i32 s19, s19, s16
	s_add_i32 s17, s34, -1
	s_mul_hi_u32 s19, s16, s19
	s_ashr_i32 s18, s17, 31
	s_abs_i32 s17, s17
	s_add_i32 s16, s16, s19
	s_mul_hi_u32 s16, s17, s16
	s_mul_i32 s19, s16, s35
	s_sub_i32 s17, s17, s19
	s_add_i32 s19, s16, 1
	s_sub_i32 s20, s17, s35
	s_cmp_ge_u32 s17, s35
	s_cselect_b32 s16, s19, s16
	s_cselect_b32 s17, s20, s17
	s_add_i32 s19, s16, 1
	s_cmp_ge_u32 s17, s35
	s_cselect_b32 s16, s19, s16
	s_xor_b32 s16, s16, s18
	s_sub_i32 s47, s16, s18
	s_cmp_lt_i32 s47, 0
	s_cbranch_scc1 .LBB16_136
; %bb.2:
	s_load_dwordx8 s[36:43], s[4:5], 0x8
	s_ashr_i32 s16, s7, 31
	v_mov_b32_e32 v1, 0
	v_mov_b32_e32 v16, v1
	;; [unrolled: 1-line block ×3, first 2 shown]
	s_waitcnt lgkmcnt(0)
	s_mul_hi_u32 s17, s40, s7
	s_mul_i32 s16, s40, s16
	s_add_i32 s16, s17, s16
	s_mul_i32 s17, s41, s7
	s_add_i32 s17, s16, s17
	s_mul_i32 s16, s40, s7
	s_ashr_i32 s5, s38, 31
	s_lshl_b64 s[16:17], s[16:17], 2
	s_mov_b32 s4, s38
	s_add_u32 s16, s36, s16
	s_addc_u32 s17, s37, s17
	s_lshl_b64 s[4:5], s[4:5], 2
	s_add_u32 s38, s16, s4
	s_addc_u32 s48, s17, s5
	s_add_u32 s4, s6, s0
	s_addc_u32 s5, s15, s1
	s_load_dword s5, s[4:5], 0x0
	s_mul_i32 s4, s14, s7
	v_mov_b32_e32 v3, v1
	v_mov_b32_e32 v4, v1
	;; [unrolled: 1-line block ×3, first 2 shown]
	s_waitcnt lgkmcnt(0)
	s_mul_i32 s6, s5, s39
	s_ashr_i32 s7, s6, 31
	s_lshl_b64 s[6:7], s[6:7], 2
	s_add_u32 s49, s38, s6
	s_addc_u32 s50, s48, s7
	s_ashr_i32 s5, s4, 31
	s_lshl_b64 s[4:5], s[4:5], 2
	s_add_u32 s6, s42, s4
	s_addc_u32 s7, s43, s5
	s_lshl_b32 s4, s34, 1
	s_ashr_i32 s5, s4, 31
	s_lshl_b64 s[4:5], s[4:5], 2
	s_add_u32 s51, s6, s4
	s_addc_u32 s52, s7, s5
	s_add_u32 s53, s51, s12
	s_addc_u32 s54, s52, s13
	s_cmp_gt_i32 s46, 0
	s_cselect_b64 s[36:37], -1, 0
	s_add_u32 s0, s0, s8
	s_addc_u32 s1, s1, s9
	s_add_u32 s0, s0, s10
	s_addc_u32 s1, s1, s11
	;; [unrolled: 2-line block ×3, first 2 shown]
	v_mov_b32_e32 v6, v1
	v_mov_b32_e32 v7, v1
	v_mov_b32_e32 v8, v1
	v_mov_b32_e32 v9, v1
	v_mov_b32_e32 v10, v1
	v_mov_b32_e32 v11, v1
	v_mov_b32_e32 v12, v1
	v_mov_b32_e32 v13, v1
	v_mov_b32_e32 v14, v1
	v_mov_b32_e32 v15, v1
	v_mov_b32_e32 v33, v16
	s_add_u32 s40, s0, 4
	v_mov_b32_e32 v32, v15
	v_mov_b32_e32 v31, v14
	;; [unrolled: 1-line block ×16, first 2 shown]
	s_mov_b32 s55, 0
	v_mov_b32_e32 v16, v15
	v_mov_b32_e32 v15, v14
	;; [unrolled: 1-line block ×15, first 2 shown]
	s_addc_u32 s41, s1, 0
	s_branch .LBB16_4
.LBB16_3:                               ;   in Loop: Header=BB16_4 Depth=1
	s_or_b64 exec, exec, s[0:1]
	s_add_i32 s0, s55, 1
	s_cmp_lg_u32 s55, s47
	s_mov_b32 s55, s0
	s_cbranch_scc0 .LBB16_136
.LBB16_4:                               ; =>This Loop Header: Depth=1
                                        ;     Child Loop BB16_39 Depth 2
	s_mul_i32 s0, s55, s35
	v_add_u32_e32 v50, s0, v0
	v_cmp_gt_i32_e64 s[0:1], s34, v50
	v_ashrrev_i32_e32 v51, 31, v50
	s_and_saveexec_b64 s[2:3], s[0:1]
	s_cbranch_execz .LBB16_6
; %bb.5:                                ;   in Loop: Header=BB16_4 Depth=1
	v_lshlrev_b64 v[34:35], 2, v[50:51]
	s_waitcnt vmcnt(0)
	v_mov_b32_e32 v2, s50
	v_add_co_u32_e32 v34, vcc, s49, v34
	v_addc_co_u32_e32 v35, vcc, v2, v35, vcc
	global_load_dword v2, v[34:35], off
.LBB16_6:                               ;   in Loop: Header=BB16_4 Depth=1
	s_or_b64 exec, exec, s[2:3]
	v_add_u32_e32 v52, s33, v50
	v_cmp_gt_i32_e64 s[2:3], s34, v52
	v_ashrrev_i32_e32 v53, 31, v52
	s_and_saveexec_b64 s[4:5], s[2:3]
	s_cbranch_execz .LBB16_8
; %bb.7:                                ;   in Loop: Header=BB16_4 Depth=1
	v_lshlrev_b64 v[34:35], 2, v[52:53]
	s_waitcnt vmcnt(0)
	v_mov_b32_e32 v3, s50
	v_add_co_u32_e32 v34, vcc, s49, v34
	v_addc_co_u32_e32 v35, vcc, v3, v35, vcc
	global_load_dword v3, v[34:35], off
.LBB16_8:                               ;   in Loop: Header=BB16_4 Depth=1
	s_or_b64 exec, exec, s[4:5]
	v_add_u32_e32 v54, s33, v52
	v_cmp_gt_i32_e64 s[4:5], s34, v54
	v_ashrrev_i32_e32 v55, 31, v54
	s_and_saveexec_b64 s[6:7], s[4:5]
	s_cbranch_execz .LBB16_10
; %bb.9:                                ;   in Loop: Header=BB16_4 Depth=1
	v_lshlrev_b64 v[34:35], 2, v[54:55]
	s_waitcnt vmcnt(0)
	v_mov_b32_e32 v4, s50
	v_add_co_u32_e32 v34, vcc, s49, v34
	v_addc_co_u32_e32 v35, vcc, v4, v35, vcc
	global_load_dword v4, v[34:35], off
.LBB16_10:                              ;   in Loop: Header=BB16_4 Depth=1
	s_or_b64 exec, exec, s[6:7]
	v_add_u32_e32 v56, s33, v54
	v_cmp_gt_i32_e64 s[6:7], s34, v56
	v_ashrrev_i32_e32 v57, 31, v56
	s_and_saveexec_b64 s[8:9], s[6:7]
	s_cbranch_execz .LBB16_12
; %bb.11:                               ;   in Loop: Header=BB16_4 Depth=1
	v_lshlrev_b64 v[34:35], 2, v[56:57]
	s_waitcnt vmcnt(0)
	v_mov_b32_e32 v5, s50
	v_add_co_u32_e32 v34, vcc, s49, v34
	v_addc_co_u32_e32 v35, vcc, v5, v35, vcc
	global_load_dword v5, v[34:35], off
.LBB16_12:                              ;   in Loop: Header=BB16_4 Depth=1
	s_or_b64 exec, exec, s[8:9]
	v_add_u32_e32 v58, s33, v56
	v_cmp_gt_i32_e64 s[8:9], s34, v58
	v_ashrrev_i32_e32 v59, 31, v58
	s_and_saveexec_b64 s[10:11], s[8:9]
	s_cbranch_execz .LBB16_14
; %bb.13:                               ;   in Loop: Header=BB16_4 Depth=1
	v_lshlrev_b64 v[34:35], 2, v[58:59]
	s_waitcnt vmcnt(0)
	v_mov_b32_e32 v6, s50
	v_add_co_u32_e32 v34, vcc, s49, v34
	v_addc_co_u32_e32 v35, vcc, v6, v35, vcc
	global_load_dword v6, v[34:35], off
.LBB16_14:                              ;   in Loop: Header=BB16_4 Depth=1
	;; [unrolled: 14-line block ×13, first 2 shown]
	s_or_b64 exec, exec, s[42:43]
	s_and_b64 vcc, exec, s[36:37]
	s_cbranch_vccz .LBB16_104
; %bb.37:                               ;   in Loop: Header=BB16_4 Depth=1
	v_lshlrev_b64 v[82:83], 2, v[50:51]
	v_lshlrev_b64 v[84:85], 2, v[52:53]
	;; [unrolled: 1-line block ×16, first 2 shown]
	s_mov_b32 s56, s46
	s_mov_b64 s[42:43], s[40:41]
	s_branch .LBB16_39
.LBB16_38:                              ;   in Loop: Header=BB16_39 Depth=2
	s_or_b64 exec, exec, s[44:45]
	v_mul_f32_e32 v18, v115, v18
	v_fma_f32 v2, v114, v2, -v18
	v_mul_f32_e32 v18, v115, v19
	v_fma_f32 v3, v114, v3, -v18
	;; [unrolled: 2-line block ×15, first 2 shown]
	v_mul_f32_e32 v18, v115, v33
	s_add_u32 s42, s42, 4
	v_fma_f32 v17, v114, v17, -v18
	s_addc_u32 s43, s43, 0
	s_add_i32 s56, s56, -1
	v_mov_b32_e32 v18, v34
	s_cmp_eq_u32 s56, 0
	v_mov_b32_e32 v19, v35
	v_mov_b32_e32 v20, v36
	;; [unrolled: 1-line block ×15, first 2 shown]
	s_waitcnt vmcnt(0)
	s_barrier
	s_cbranch_scc1 .LBB16_103
.LBB16_39:                              ;   Parent Loop BB16_4 Depth=1
                                        ; =>  This Inner Loop Header: Depth=2
	global_load_dword v34, v1, s[42:43]
	v_mov_b32_e32 v38, s52
	v_mov_b32_e32 v39, s54
	s_waitcnt vmcnt(0)
	v_ashrrev_i32_e32 v35, 31, v34
	v_lshlrev_b64 v[35:36], 2, v[34:35]
	v_readfirstlane_b32 s44, v34
	v_add_co_u32_e32 v37, vcc, s51, v35
	v_addc_co_u32_e32 v38, vcc, v38, v36, vcc
	v_add_co_u32_e32 v35, vcc, s53, v35
	v_addc_co_u32_e32 v36, vcc, v39, v36, vcc
	global_load_dword v114, v[37:38], off
	global_load_dword v115, v[35:36], off
	s_mul_i32 s44, s44, s39
	s_ashr_i32 s45, s44, 31
	s_lshl_b64 s[44:45], s[44:45], 2
	s_add_u32 s57, s38, s44
	s_addc_u32 s58, s48, s45
	s_and_saveexec_b64 s[44:45], s[0:1]
	s_cbranch_execnz .LBB16_88
; %bb.40:                               ;   in Loop: Header=BB16_39 Depth=2
	s_or_b64 exec, exec, s[44:45]
	s_and_saveexec_b64 s[44:45], s[2:3]
	s_cbranch_execnz .LBB16_89
.LBB16_41:                              ;   in Loop: Header=BB16_39 Depth=2
	s_or_b64 exec, exec, s[44:45]
	s_and_saveexec_b64 s[44:45], s[4:5]
	s_cbranch_execnz .LBB16_90
.LBB16_42:                              ;   in Loop: Header=BB16_39 Depth=2
	s_or_b64 exec, exec, s[44:45]
	s_and_saveexec_b64 s[44:45], s[6:7]
	s_cbranch_execnz .LBB16_91
.LBB16_43:                              ;   in Loop: Header=BB16_39 Depth=2
	s_or_b64 exec, exec, s[44:45]
	s_and_saveexec_b64 s[44:45], s[8:9]
	s_cbranch_execnz .LBB16_92
.LBB16_44:                              ;   in Loop: Header=BB16_39 Depth=2
	s_or_b64 exec, exec, s[44:45]
	s_and_saveexec_b64 s[44:45], s[10:11]
	s_cbranch_execnz .LBB16_93
.LBB16_45:                              ;   in Loop: Header=BB16_39 Depth=2
	s_or_b64 exec, exec, s[44:45]
	s_and_saveexec_b64 s[44:45], s[12:13]
	s_cbranch_execnz .LBB16_94
.LBB16_46:                              ;   in Loop: Header=BB16_39 Depth=2
	s_or_b64 exec, exec, s[44:45]
	s_and_saveexec_b64 s[44:45], s[14:15]
	s_cbranch_execnz .LBB16_95
.LBB16_47:                              ;   in Loop: Header=BB16_39 Depth=2
	s_or_b64 exec, exec, s[44:45]
	s_and_saveexec_b64 s[44:45], s[16:17]
	s_cbranch_execnz .LBB16_96
.LBB16_48:                              ;   in Loop: Header=BB16_39 Depth=2
	s_or_b64 exec, exec, s[44:45]
	s_and_saveexec_b64 s[44:45], s[18:19]
	s_cbranch_execnz .LBB16_97
.LBB16_49:                              ;   in Loop: Header=BB16_39 Depth=2
	s_or_b64 exec, exec, s[44:45]
	s_and_saveexec_b64 s[44:45], s[20:21]
	s_cbranch_execnz .LBB16_98
.LBB16_50:                              ;   in Loop: Header=BB16_39 Depth=2
	s_or_b64 exec, exec, s[44:45]
	s_and_saveexec_b64 s[44:45], s[22:23]
	s_cbranch_execnz .LBB16_99
.LBB16_51:                              ;   in Loop: Header=BB16_39 Depth=2
	s_or_b64 exec, exec, s[44:45]
	s_and_saveexec_b64 s[44:45], s[24:25]
	s_cbranch_execnz .LBB16_100
.LBB16_52:                              ;   in Loop: Header=BB16_39 Depth=2
	s_or_b64 exec, exec, s[44:45]
	s_and_saveexec_b64 s[44:45], s[26:27]
	s_cbranch_execnz .LBB16_101
.LBB16_53:                              ;   in Loop: Header=BB16_39 Depth=2
	s_or_b64 exec, exec, s[44:45]
	s_and_saveexec_b64 s[44:45], s[28:29]
	s_cbranch_execnz .LBB16_102
.LBB16_54:                              ;   in Loop: Header=BB16_39 Depth=2
	s_or_b64 exec, exec, s[44:45]
	s_and_saveexec_b64 s[44:45], s[30:31]
	s_cbranch_execz .LBB16_56
.LBB16_55:                              ;   in Loop: Header=BB16_39 Depth=2
	v_mov_b32_e32 v34, s58
	v_add_co_u32_e32 v33, vcc, s57, v112
	v_addc_co_u32_e32 v34, vcc, v34, v113, vcc
	global_load_dword v33, v[33:34], off
.LBB16_56:                              ;   in Loop: Header=BB16_39 Depth=2
	s_or_b64 exec, exec, s[44:45]
	s_waitcnt vmcnt(0)
	v_mul_f32_e32 v34, v114, v18
	v_fmac_f32_e32 v34, v115, v2
	s_and_saveexec_b64 s[44:45], s[0:1]
	s_cbranch_execz .LBB16_58
; %bb.57:                               ;   in Loop: Header=BB16_39 Depth=2
	v_mov_b32_e32 v36, s58
	v_add_co_u32_e32 v35, vcc, s57, v82
	v_addc_co_u32_e32 v36, vcc, v36, v83, vcc
	global_store_dword v[35:36], v34, off
.LBB16_58:                              ;   in Loop: Header=BB16_39 Depth=2
	s_or_b64 exec, exec, s[44:45]
	v_mul_f32_e32 v35, v114, v19
	v_fmac_f32_e32 v35, v115, v3
	s_and_saveexec_b64 s[44:45], s[2:3]
	s_cbranch_execz .LBB16_60
; %bb.59:                               ;   in Loop: Header=BB16_39 Depth=2
	v_mov_b32_e32 v37, s58
	v_add_co_u32_e32 v36, vcc, s57, v84
	v_addc_co_u32_e32 v37, vcc, v37, v85, vcc
	global_store_dword v[36:37], v35, off
.LBB16_60:                              ;   in Loop: Header=BB16_39 Depth=2
	s_or_b64 exec, exec, s[44:45]
	;; [unrolled: 11-line block ×15, first 2 shown]
	v_mul_f32_e32 v49, v114, v33
	v_fmac_f32_e32 v49, v115, v17
	s_and_saveexec_b64 s[44:45], s[30:31]
	s_cbranch_execz .LBB16_38
; %bb.87:                               ;   in Loop: Header=BB16_39 Depth=2
	v_mov_b32_e32 v117, s58
	v_add_co_u32_e32 v116, vcc, s57, v112
	v_addc_co_u32_e32 v117, vcc, v117, v113, vcc
	global_store_dword v[116:117], v49, off
	s_branch .LBB16_38
.LBB16_88:                              ;   in Loop: Header=BB16_39 Depth=2
	v_mov_b32_e32 v18, s58
	v_add_co_u32_e32 v34, vcc, s57, v82
	v_addc_co_u32_e32 v35, vcc, v18, v83, vcc
	global_load_dword v18, v[34:35], off
	s_or_b64 exec, exec, s[44:45]
	s_and_saveexec_b64 s[44:45], s[2:3]
	s_cbranch_execz .LBB16_41
.LBB16_89:                              ;   in Loop: Header=BB16_39 Depth=2
	v_mov_b32_e32 v19, s58
	v_add_co_u32_e32 v34, vcc, s57, v84
	v_addc_co_u32_e32 v35, vcc, v19, v85, vcc
	global_load_dword v19, v[34:35], off
	s_or_b64 exec, exec, s[44:45]
	s_and_saveexec_b64 s[44:45], s[4:5]
	s_cbranch_execz .LBB16_42
.LBB16_90:                              ;   in Loop: Header=BB16_39 Depth=2
	v_mov_b32_e32 v20, s58
	v_add_co_u32_e32 v34, vcc, s57, v86
	v_addc_co_u32_e32 v35, vcc, v20, v87, vcc
	global_load_dword v20, v[34:35], off
	s_or_b64 exec, exec, s[44:45]
	s_and_saveexec_b64 s[44:45], s[6:7]
	s_cbranch_execz .LBB16_43
.LBB16_91:                              ;   in Loop: Header=BB16_39 Depth=2
	v_mov_b32_e32 v21, s58
	v_add_co_u32_e32 v34, vcc, s57, v88
	v_addc_co_u32_e32 v35, vcc, v21, v89, vcc
	global_load_dword v21, v[34:35], off
	s_or_b64 exec, exec, s[44:45]
	s_and_saveexec_b64 s[44:45], s[8:9]
	s_cbranch_execz .LBB16_44
.LBB16_92:                              ;   in Loop: Header=BB16_39 Depth=2
	v_mov_b32_e32 v22, s58
	v_add_co_u32_e32 v34, vcc, s57, v90
	v_addc_co_u32_e32 v35, vcc, v22, v91, vcc
	global_load_dword v22, v[34:35], off
	s_or_b64 exec, exec, s[44:45]
	s_and_saveexec_b64 s[44:45], s[10:11]
	s_cbranch_execz .LBB16_45
.LBB16_93:                              ;   in Loop: Header=BB16_39 Depth=2
	v_mov_b32_e32 v23, s58
	v_add_co_u32_e32 v34, vcc, s57, v92
	v_addc_co_u32_e32 v35, vcc, v23, v93, vcc
	global_load_dword v23, v[34:35], off
	s_or_b64 exec, exec, s[44:45]
	s_and_saveexec_b64 s[44:45], s[12:13]
	s_cbranch_execz .LBB16_46
.LBB16_94:                              ;   in Loop: Header=BB16_39 Depth=2
	v_mov_b32_e32 v24, s58
	v_add_co_u32_e32 v34, vcc, s57, v94
	v_addc_co_u32_e32 v35, vcc, v24, v95, vcc
	global_load_dword v24, v[34:35], off
	s_or_b64 exec, exec, s[44:45]
	s_and_saveexec_b64 s[44:45], s[14:15]
	s_cbranch_execz .LBB16_47
.LBB16_95:                              ;   in Loop: Header=BB16_39 Depth=2
	v_mov_b32_e32 v25, s58
	v_add_co_u32_e32 v34, vcc, s57, v96
	v_addc_co_u32_e32 v35, vcc, v25, v97, vcc
	global_load_dword v25, v[34:35], off
	s_or_b64 exec, exec, s[44:45]
	s_and_saveexec_b64 s[44:45], s[16:17]
	s_cbranch_execz .LBB16_48
.LBB16_96:                              ;   in Loop: Header=BB16_39 Depth=2
	v_mov_b32_e32 v26, s58
	v_add_co_u32_e32 v34, vcc, s57, v98
	v_addc_co_u32_e32 v35, vcc, v26, v99, vcc
	global_load_dword v26, v[34:35], off
	s_or_b64 exec, exec, s[44:45]
	s_and_saveexec_b64 s[44:45], s[18:19]
	s_cbranch_execz .LBB16_49
.LBB16_97:                              ;   in Loop: Header=BB16_39 Depth=2
	v_mov_b32_e32 v27, s58
	v_add_co_u32_e32 v34, vcc, s57, v100
	v_addc_co_u32_e32 v35, vcc, v27, v101, vcc
	global_load_dword v27, v[34:35], off
	s_or_b64 exec, exec, s[44:45]
	s_and_saveexec_b64 s[44:45], s[20:21]
	s_cbranch_execz .LBB16_50
.LBB16_98:                              ;   in Loop: Header=BB16_39 Depth=2
	v_mov_b32_e32 v28, s58
	v_add_co_u32_e32 v34, vcc, s57, v102
	v_addc_co_u32_e32 v35, vcc, v28, v103, vcc
	global_load_dword v28, v[34:35], off
	s_or_b64 exec, exec, s[44:45]
	s_and_saveexec_b64 s[44:45], s[22:23]
	s_cbranch_execz .LBB16_51
.LBB16_99:                              ;   in Loop: Header=BB16_39 Depth=2
	v_mov_b32_e32 v29, s58
	v_add_co_u32_e32 v34, vcc, s57, v104
	v_addc_co_u32_e32 v35, vcc, v29, v105, vcc
	global_load_dword v29, v[34:35], off
	s_or_b64 exec, exec, s[44:45]
	s_and_saveexec_b64 s[44:45], s[24:25]
	s_cbranch_execz .LBB16_52
.LBB16_100:                             ;   in Loop: Header=BB16_39 Depth=2
	v_mov_b32_e32 v30, s58
	v_add_co_u32_e32 v34, vcc, s57, v106
	v_addc_co_u32_e32 v35, vcc, v30, v107, vcc
	global_load_dword v30, v[34:35], off
	s_or_b64 exec, exec, s[44:45]
	s_and_saveexec_b64 s[44:45], s[26:27]
	s_cbranch_execz .LBB16_53
.LBB16_101:                             ;   in Loop: Header=BB16_39 Depth=2
	v_mov_b32_e32 v31, s58
	v_add_co_u32_e32 v34, vcc, s57, v108
	v_addc_co_u32_e32 v35, vcc, v31, v109, vcc
	global_load_dword v31, v[34:35], off
	s_or_b64 exec, exec, s[44:45]
	s_and_saveexec_b64 s[44:45], s[28:29]
	s_cbranch_execz .LBB16_54
.LBB16_102:                             ;   in Loop: Header=BB16_39 Depth=2
	v_mov_b32_e32 v32, s58
	v_add_co_u32_e32 v34, vcc, s57, v110
	v_addc_co_u32_e32 v35, vcc, v32, v111, vcc
	global_load_dword v32, v[34:35], off
	s_or_b64 exec, exec, s[44:45]
	s_and_saveexec_b64 s[44:45], s[30:31]
	s_cbranch_execnz .LBB16_55
	s_branch .LBB16_56
.LBB16_103:                             ;   in Loop: Header=BB16_4 Depth=1
	v_mov_b32_e32 v18, v34
	v_mov_b32_e32 v19, v35
	;; [unrolled: 1-line block ×16, first 2 shown]
.LBB16_104:                             ;   in Loop: Header=BB16_4 Depth=1
	s_and_saveexec_b64 s[42:43], s[0:1]
	s_cbranch_execnz .LBB16_120
; %bb.105:                              ;   in Loop: Header=BB16_4 Depth=1
	s_or_b64 exec, exec, s[42:43]
	s_and_saveexec_b64 s[0:1], s[2:3]
	s_cbranch_execnz .LBB16_121
.LBB16_106:                             ;   in Loop: Header=BB16_4 Depth=1
	s_or_b64 exec, exec, s[0:1]
	s_and_saveexec_b64 s[0:1], s[4:5]
	s_cbranch_execnz .LBB16_122
.LBB16_107:                             ;   in Loop: Header=BB16_4 Depth=1
	s_or_b64 exec, exec, s[0:1]
	s_and_saveexec_b64 s[0:1], s[6:7]
	s_cbranch_execnz .LBB16_123
.LBB16_108:                             ;   in Loop: Header=BB16_4 Depth=1
	s_or_b64 exec, exec, s[0:1]
	s_and_saveexec_b64 s[0:1], s[8:9]
	s_cbranch_execnz .LBB16_124
.LBB16_109:                             ;   in Loop: Header=BB16_4 Depth=1
	s_or_b64 exec, exec, s[0:1]
	s_and_saveexec_b64 s[0:1], s[10:11]
	s_cbranch_execnz .LBB16_125
.LBB16_110:                             ;   in Loop: Header=BB16_4 Depth=1
	s_or_b64 exec, exec, s[0:1]
	s_and_saveexec_b64 s[0:1], s[12:13]
	s_cbranch_execnz .LBB16_126
.LBB16_111:                             ;   in Loop: Header=BB16_4 Depth=1
	s_or_b64 exec, exec, s[0:1]
	s_and_saveexec_b64 s[0:1], s[14:15]
	s_cbranch_execnz .LBB16_127
.LBB16_112:                             ;   in Loop: Header=BB16_4 Depth=1
	s_or_b64 exec, exec, s[0:1]
	s_and_saveexec_b64 s[0:1], s[16:17]
	s_cbranch_execnz .LBB16_128
.LBB16_113:                             ;   in Loop: Header=BB16_4 Depth=1
	s_or_b64 exec, exec, s[0:1]
	s_and_saveexec_b64 s[0:1], s[18:19]
	s_cbranch_execnz .LBB16_129
.LBB16_114:                             ;   in Loop: Header=BB16_4 Depth=1
	s_or_b64 exec, exec, s[0:1]
	s_and_saveexec_b64 s[0:1], s[20:21]
	s_cbranch_execnz .LBB16_130
.LBB16_115:                             ;   in Loop: Header=BB16_4 Depth=1
	s_or_b64 exec, exec, s[0:1]
	s_and_saveexec_b64 s[0:1], s[22:23]
	s_cbranch_execnz .LBB16_131
.LBB16_116:                             ;   in Loop: Header=BB16_4 Depth=1
	s_or_b64 exec, exec, s[0:1]
	s_and_saveexec_b64 s[0:1], s[24:25]
	s_cbranch_execnz .LBB16_132
.LBB16_117:                             ;   in Loop: Header=BB16_4 Depth=1
	s_or_b64 exec, exec, s[0:1]
	s_and_saveexec_b64 s[0:1], s[26:27]
	s_cbranch_execnz .LBB16_133
.LBB16_118:                             ;   in Loop: Header=BB16_4 Depth=1
	s_or_b64 exec, exec, s[0:1]
	s_and_saveexec_b64 s[0:1], s[28:29]
	s_cbranch_execnz .LBB16_134
.LBB16_119:                             ;   in Loop: Header=BB16_4 Depth=1
	s_or_b64 exec, exec, s[0:1]
	s_and_saveexec_b64 s[0:1], s[30:31]
	s_cbranch_execz .LBB16_3
	s_branch .LBB16_135
.LBB16_120:                             ;   in Loop: Header=BB16_4 Depth=1
	v_lshlrev_b64 v[34:35], 2, v[50:51]
	v_mov_b32_e32 v36, s50
	v_add_co_u32_e32 v34, vcc, s49, v34
	v_addc_co_u32_e32 v35, vcc, v36, v35, vcc
	s_waitcnt vmcnt(0)
	global_store_dword v[34:35], v2, off
	s_or_b64 exec, exec, s[42:43]
	s_and_saveexec_b64 s[0:1], s[2:3]
	s_cbranch_execz .LBB16_106
.LBB16_121:                             ;   in Loop: Header=BB16_4 Depth=1
	v_lshlrev_b64 v[34:35], 2, v[52:53]
	v_mov_b32_e32 v36, s50
	v_add_co_u32_e32 v34, vcc, s49, v34
	v_addc_co_u32_e32 v35, vcc, v36, v35, vcc
	s_waitcnt vmcnt(0)
	global_store_dword v[34:35], v3, off
	s_or_b64 exec, exec, s[0:1]
	s_and_saveexec_b64 s[0:1], s[4:5]
	s_cbranch_execz .LBB16_107
.LBB16_122:                             ;   in Loop: Header=BB16_4 Depth=1
	v_lshlrev_b64 v[34:35], 2, v[54:55]
	v_mov_b32_e32 v36, s50
	v_add_co_u32_e32 v34, vcc, s49, v34
	v_addc_co_u32_e32 v35, vcc, v36, v35, vcc
	s_waitcnt vmcnt(0)
	global_store_dword v[34:35], v4, off
	s_or_b64 exec, exec, s[0:1]
	s_and_saveexec_b64 s[0:1], s[6:7]
	s_cbranch_execz .LBB16_108
.LBB16_123:                             ;   in Loop: Header=BB16_4 Depth=1
	v_lshlrev_b64 v[34:35], 2, v[56:57]
	v_mov_b32_e32 v36, s50
	v_add_co_u32_e32 v34, vcc, s49, v34
	v_addc_co_u32_e32 v35, vcc, v36, v35, vcc
	s_waitcnt vmcnt(0)
	global_store_dword v[34:35], v5, off
	s_or_b64 exec, exec, s[0:1]
	s_and_saveexec_b64 s[0:1], s[8:9]
	s_cbranch_execz .LBB16_109
.LBB16_124:                             ;   in Loop: Header=BB16_4 Depth=1
	v_lshlrev_b64 v[34:35], 2, v[58:59]
	v_mov_b32_e32 v36, s50
	v_add_co_u32_e32 v34, vcc, s49, v34
	v_addc_co_u32_e32 v35, vcc, v36, v35, vcc
	s_waitcnt vmcnt(0)
	global_store_dword v[34:35], v6, off
	s_or_b64 exec, exec, s[0:1]
	s_and_saveexec_b64 s[0:1], s[10:11]
	s_cbranch_execz .LBB16_110
.LBB16_125:                             ;   in Loop: Header=BB16_4 Depth=1
	v_lshlrev_b64 v[34:35], 2, v[60:61]
	v_mov_b32_e32 v36, s50
	v_add_co_u32_e32 v34, vcc, s49, v34
	v_addc_co_u32_e32 v35, vcc, v36, v35, vcc
	s_waitcnt vmcnt(0)
	global_store_dword v[34:35], v7, off
	s_or_b64 exec, exec, s[0:1]
	s_and_saveexec_b64 s[0:1], s[12:13]
	s_cbranch_execz .LBB16_111
.LBB16_126:                             ;   in Loop: Header=BB16_4 Depth=1
	v_lshlrev_b64 v[34:35], 2, v[62:63]
	v_mov_b32_e32 v36, s50
	v_add_co_u32_e32 v34, vcc, s49, v34
	v_addc_co_u32_e32 v35, vcc, v36, v35, vcc
	s_waitcnt vmcnt(0)
	global_store_dword v[34:35], v8, off
	s_or_b64 exec, exec, s[0:1]
	s_and_saveexec_b64 s[0:1], s[14:15]
	s_cbranch_execz .LBB16_112
.LBB16_127:                             ;   in Loop: Header=BB16_4 Depth=1
	v_lshlrev_b64 v[34:35], 2, v[64:65]
	v_mov_b32_e32 v36, s50
	v_add_co_u32_e32 v34, vcc, s49, v34
	v_addc_co_u32_e32 v35, vcc, v36, v35, vcc
	s_waitcnt vmcnt(0)
	global_store_dword v[34:35], v9, off
	s_or_b64 exec, exec, s[0:1]
	s_and_saveexec_b64 s[0:1], s[16:17]
	s_cbranch_execz .LBB16_113
.LBB16_128:                             ;   in Loop: Header=BB16_4 Depth=1
	v_lshlrev_b64 v[34:35], 2, v[66:67]
	v_mov_b32_e32 v36, s50
	v_add_co_u32_e32 v34, vcc, s49, v34
	v_addc_co_u32_e32 v35, vcc, v36, v35, vcc
	s_waitcnt vmcnt(0)
	global_store_dword v[34:35], v10, off
	s_or_b64 exec, exec, s[0:1]
	s_and_saveexec_b64 s[0:1], s[18:19]
	s_cbranch_execz .LBB16_114
.LBB16_129:                             ;   in Loop: Header=BB16_4 Depth=1
	v_lshlrev_b64 v[34:35], 2, v[68:69]
	v_mov_b32_e32 v36, s50
	v_add_co_u32_e32 v34, vcc, s49, v34
	v_addc_co_u32_e32 v35, vcc, v36, v35, vcc
	s_waitcnt vmcnt(0)
	global_store_dword v[34:35], v11, off
	s_or_b64 exec, exec, s[0:1]
	s_and_saveexec_b64 s[0:1], s[20:21]
	s_cbranch_execz .LBB16_115
.LBB16_130:                             ;   in Loop: Header=BB16_4 Depth=1
	v_lshlrev_b64 v[34:35], 2, v[70:71]
	v_mov_b32_e32 v36, s50
	v_add_co_u32_e32 v34, vcc, s49, v34
	v_addc_co_u32_e32 v35, vcc, v36, v35, vcc
	s_waitcnt vmcnt(0)
	global_store_dword v[34:35], v12, off
	s_or_b64 exec, exec, s[0:1]
	s_and_saveexec_b64 s[0:1], s[22:23]
	s_cbranch_execz .LBB16_116
.LBB16_131:                             ;   in Loop: Header=BB16_4 Depth=1
	v_lshlrev_b64 v[34:35], 2, v[72:73]
	v_mov_b32_e32 v36, s50
	v_add_co_u32_e32 v34, vcc, s49, v34
	v_addc_co_u32_e32 v35, vcc, v36, v35, vcc
	s_waitcnt vmcnt(0)
	global_store_dword v[34:35], v13, off
	s_or_b64 exec, exec, s[0:1]
	s_and_saveexec_b64 s[0:1], s[24:25]
	s_cbranch_execz .LBB16_117
.LBB16_132:                             ;   in Loop: Header=BB16_4 Depth=1
	v_lshlrev_b64 v[34:35], 2, v[74:75]
	v_mov_b32_e32 v36, s50
	v_add_co_u32_e32 v34, vcc, s49, v34
	v_addc_co_u32_e32 v35, vcc, v36, v35, vcc
	s_waitcnt vmcnt(0)
	global_store_dword v[34:35], v14, off
	s_or_b64 exec, exec, s[0:1]
	s_and_saveexec_b64 s[0:1], s[26:27]
	s_cbranch_execz .LBB16_118
.LBB16_133:                             ;   in Loop: Header=BB16_4 Depth=1
	v_lshlrev_b64 v[34:35], 2, v[76:77]
	v_mov_b32_e32 v36, s50
	v_add_co_u32_e32 v34, vcc, s49, v34
	v_addc_co_u32_e32 v35, vcc, v36, v35, vcc
	s_waitcnt vmcnt(0)
	global_store_dword v[34:35], v15, off
	s_or_b64 exec, exec, s[0:1]
	s_and_saveexec_b64 s[0:1], s[28:29]
	s_cbranch_execz .LBB16_119
.LBB16_134:                             ;   in Loop: Header=BB16_4 Depth=1
	v_lshlrev_b64 v[34:35], 2, v[78:79]
	v_mov_b32_e32 v36, s50
	v_add_co_u32_e32 v34, vcc, s49, v34
	v_addc_co_u32_e32 v35, vcc, v36, v35, vcc
	s_waitcnt vmcnt(0)
	global_store_dword v[34:35], v16, off
	s_or_b64 exec, exec, s[0:1]
	s_and_saveexec_b64 s[0:1], s[30:31]
	s_cbranch_execz .LBB16_3
.LBB16_135:                             ;   in Loop: Header=BB16_4 Depth=1
	v_lshlrev_b64 v[34:35], 2, v[80:81]
	v_mov_b32_e32 v36, s50
	v_add_co_u32_e32 v34, vcc, s49, v34
	v_addc_co_u32_e32 v35, vcc, v36, v35, vcc
	s_waitcnt vmcnt(0)
	global_store_dword v[34:35], v17, off
	s_branch .LBB16_3
.LBB16_136:
	s_endpgm
	.section	.rodata,"a",@progbits
	.p2align	6, 0x0
	.amdhsa_kernel _ZN9rocsolver6v33100L24stedc_mergeRotate_kernelIfEEviiPT_iilS3_Pi
		.amdhsa_group_segment_fixed_size 0
		.amdhsa_private_segment_fixed_size 0
		.amdhsa_kernarg_size 304
		.amdhsa_user_sgpr_count 6
		.amdhsa_user_sgpr_private_segment_buffer 1
		.amdhsa_user_sgpr_dispatch_ptr 0
		.amdhsa_user_sgpr_queue_ptr 0
		.amdhsa_user_sgpr_kernarg_segment_ptr 1
		.amdhsa_user_sgpr_dispatch_id 0
		.amdhsa_user_sgpr_flat_scratch_init 0
		.amdhsa_user_sgpr_private_segment_size 0
		.amdhsa_uses_dynamic_stack 0
		.amdhsa_system_sgpr_private_segment_wavefront_offset 0
		.amdhsa_system_sgpr_workgroup_id_x 1
		.amdhsa_system_sgpr_workgroup_id_y 1
		.amdhsa_system_sgpr_workgroup_id_z 0
		.amdhsa_system_sgpr_workgroup_info 0
		.amdhsa_system_vgpr_workitem_id 0
		.amdhsa_next_free_vgpr 118
		.amdhsa_next_free_sgpr 59
		.amdhsa_reserve_vcc 1
		.amdhsa_reserve_flat_scratch 0
		.amdhsa_float_round_mode_32 0
		.amdhsa_float_round_mode_16_64 0
		.amdhsa_float_denorm_mode_32 3
		.amdhsa_float_denorm_mode_16_64 3
		.amdhsa_dx10_clamp 1
		.amdhsa_ieee_mode 1
		.amdhsa_fp16_overflow 0
		.amdhsa_exception_fp_ieee_invalid_op 0
		.amdhsa_exception_fp_denorm_src 0
		.amdhsa_exception_fp_ieee_div_zero 0
		.amdhsa_exception_fp_ieee_overflow 0
		.amdhsa_exception_fp_ieee_underflow 0
		.amdhsa_exception_fp_ieee_inexact 0
		.amdhsa_exception_int_div_zero 0
	.end_amdhsa_kernel
	.section	.text._ZN9rocsolver6v33100L24stedc_mergeRotate_kernelIfEEviiPT_iilS3_Pi,"axG",@progbits,_ZN9rocsolver6v33100L24stedc_mergeRotate_kernelIfEEviiPT_iilS3_Pi,comdat
.Lfunc_end16:
	.size	_ZN9rocsolver6v33100L24stedc_mergeRotate_kernelIfEEviiPT_iilS3_Pi, .Lfunc_end16-_ZN9rocsolver6v33100L24stedc_mergeRotate_kernelIfEEviiPT_iilS3_Pi
                                        ; -- End function
	.set _ZN9rocsolver6v33100L24stedc_mergeRotate_kernelIfEEviiPT_iilS3_Pi.num_vgpr, 118
	.set _ZN9rocsolver6v33100L24stedc_mergeRotate_kernelIfEEviiPT_iilS3_Pi.num_agpr, 0
	.set _ZN9rocsolver6v33100L24stedc_mergeRotate_kernelIfEEviiPT_iilS3_Pi.numbered_sgpr, 59
	.set _ZN9rocsolver6v33100L24stedc_mergeRotate_kernelIfEEviiPT_iilS3_Pi.num_named_barrier, 0
	.set _ZN9rocsolver6v33100L24stedc_mergeRotate_kernelIfEEviiPT_iilS3_Pi.private_seg_size, 0
	.set _ZN9rocsolver6v33100L24stedc_mergeRotate_kernelIfEEviiPT_iilS3_Pi.uses_vcc, 1
	.set _ZN9rocsolver6v33100L24stedc_mergeRotate_kernelIfEEviiPT_iilS3_Pi.uses_flat_scratch, 0
	.set _ZN9rocsolver6v33100L24stedc_mergeRotate_kernelIfEEviiPT_iilS3_Pi.has_dyn_sized_stack, 0
	.set _ZN9rocsolver6v33100L24stedc_mergeRotate_kernelIfEEviiPT_iilS3_Pi.has_recursion, 0
	.set _ZN9rocsolver6v33100L24stedc_mergeRotate_kernelIfEEviiPT_iilS3_Pi.has_indirect_call, 0
	.section	.AMDGPU.csdata,"",@progbits
; Kernel info:
; codeLenInByte = 4464
; TotalNumSgprs: 63
; NumVgprs: 118
; ScratchSize: 0
; MemoryBound: 0
; FloatMode: 240
; IeeeMode: 1
; LDSByteSize: 0 bytes/workgroup (compile time only)
; SGPRBlocks: 7
; VGPRBlocks: 29
; NumSGPRsForWavesPerEU: 63
; NumVGPRsForWavesPerEU: 118
; Occupancy: 2
; WaveLimiterHint : 1
; COMPUTE_PGM_RSRC2:SCRATCH_EN: 0
; COMPUTE_PGM_RSRC2:USER_SGPR: 6
; COMPUTE_PGM_RSRC2:TRAP_HANDLER: 0
; COMPUTE_PGM_RSRC2:TGID_X_EN: 1
; COMPUTE_PGM_RSRC2:TGID_Y_EN: 1
; COMPUTE_PGM_RSRC2:TGID_Z_EN: 0
; COMPUTE_PGM_RSRC2:TIDIG_COMP_CNT: 0
	.section	.text._ZN9rocsolver6v33100L31stedc_mergeValues_SortDZ_kernelIfEEviiPT_lS3_Pi,"axG",@progbits,_ZN9rocsolver6v33100L31stedc_mergeValues_SortDZ_kernelIfEEviiPT_lS3_Pi,comdat
	.globl	_ZN9rocsolver6v33100L31stedc_mergeValues_SortDZ_kernelIfEEviiPT_lS3_Pi ; -- Begin function _ZN9rocsolver6v33100L31stedc_mergeValues_SortDZ_kernelIfEEviiPT_lS3_Pi
	.p2align	8
	.type	_ZN9rocsolver6v33100L31stedc_mergeValues_SortDZ_kernelIfEEviiPT_lS3_Pi,@function
_ZN9rocsolver6v33100L31stedc_mergeValues_SortDZ_kernelIfEEviiPT_lS3_Pi: ; @_ZN9rocsolver6v33100L31stedc_mergeValues_SortDZ_kernelIfEEviiPT_lS3_Pi
; %bb.0:
	s_load_dword s20, s[4:5], 0x4
	s_load_dwordx8 s[8:15], s[4:5], 0x8
	s_load_dword s16, s[4:5], 0x34
	s_ashr_i32 s0, s7, 31
	s_waitcnt lgkmcnt(0)
	s_ashr_i32 s21, s20, 31
	s_mul_hi_u32 s1, s10, s7
	s_mul_i32 s0, s10, s0
	s_add_i32 s0, s1, s0
	s_mul_i32 s1, s11, s7
	s_add_i32 s1, s0, s1
	s_mul_i32 s0, s10, s7
	s_lshl_b64 s[0:1], s[0:1], 2
	s_mul_i32 s2, s20, s7
	s_add_u32 s41, s8, s0
	s_mul_i32 s0, s2, 13
	s_addc_u32 s42, s9, s1
	s_ashr_i32 s1, s0, 31
	s_lshl_b64 s[0:1], s[0:1], 2
	s_add_u32 s3, s14, s0
	s_addc_u32 s4, s15, s1
	s_lshl_b32 s0, s20, 3
	s_ashr_i32 s1, s0, 31
	s_lshl_b64 s[0:1], s[0:1], 2
	s_add_u32 s44, s3, s0
	s_addc_u32 s45, s4, s1
	s_lshl_b64 s[0:1], s[20:21], 3
	s_add_u32 s30, s44, s0
	s_addc_u32 s31, s45, s1
	s_mul_i32 s1, s20, 0xffffffec
	s_mul_hi_i32 s0, s20, 0xffffffec
	s_add_u32 s4, s30, s1
	s_addc_u32 s5, s31, s0
	s_lshl_b64 s[24:25], s[20:21], 2
	s_add_u32 s35, s4, s24
	s_mul_i32 s2, s2, 10
	s_addc_u32 s36, s5, s25
	s_mul_i32 s0, s20, 7
	s_ashr_i32 s3, s2, 31
	s_ashr_i32 s1, s0, 31
	s_lshl_b64 s[2:3], s[2:3], 2
	s_add_u32 s2, s12, s2
	s_addc_u32 s3, s13, s3
	s_lshl_b64 s[0:1], s[0:1], 2
	s_add_u32 s28, s2, s0
	s_addc_u32 s29, s3, s1
	s_add_u32 s33, s28, s24
	s_addc_u32 s34, s29, s25
	;; [unrolled: 2-line block ×3, first 2 shown]
	s_ashr_i32 s7, s6, 31
	s_lshl_b64 s[22:23], s[6:7], 2
	s_add_u32 s0, s37, s22
	s_addc_u32 s1, s38, s23
	s_load_dword s7, s[0:1], 0x0
	s_add_u32 s0, s41, s22
	s_addc_u32 s1, s42, s23
	s_add_u32 s2, s2, s22
	s_addc_u32 s3, s3, s23
	;; [unrolled: 2-line block ×4, first 2 shown]
	s_and_b32 s43, s16, 0xffff
	s_lshl_b32 s46, s43, 3
	v_cvt_f32_u32_e32 v1, s46
	s_waitcnt lgkmcnt(0)
	v_cmp_lt_f32_e64 s[10:11], s7, 0
	s_load_dword s47, s[4:5], 0x0
	s_load_dword s7, s[0:1], 0x0
	;; [unrolled: 1-line block ×4, first 2 shown]
	v_rcp_iflag_f32_e32 v1, v1
	s_sub_i32 s2, 0, s46
	s_waitcnt lgkmcnt(0)
	s_add_i32 s0, s47, -1
	s_ashr_i32 s1, s0, 31
	v_mul_f32_e32 v1, 0x4f7ffffe, v1
	v_cvt_u32_f32_e32 v1, v1
	s_abs_i32 s0, s0
	v_cndmask_b32_e64 v21, 1.0, -1.0, s[10:11]
	v_mul_f32_e32 v19, s7, v21
	v_readfirstlane_b32 s3, v1
	s_mul_i32 s2, s2, s3
	s_mul_hi_u32 s2, s3, s2
	s_add_i32 s3, s3, s2
	s_mul_hi_u32 s2, s0, s3
	s_mul_i32 s3, s2, s46
	s_sub_i32 s0, s0, s3
	s_add_i32 s3, s2, 1
	s_sub_i32 s4, s0, s46
	s_cmp_ge_u32 s0, s46
	s_cselect_b32 s2, s3, s2
	s_cselect_b32 s0, s4, s0
	s_add_i32 s3, s2, 1
	s_cmp_ge_u32 s0, s46
	s_cselect_b32 s0, s3, s2
	s_xor_b32 s0, s0, s1
	s_sub_i32 s0, s0, s1
	s_cmp_lt_i32 s0, 0
	s_cbranch_scc1 .LBB17_35
; %bb.1:
	s_add_u32 s2, s44, s22
	s_addc_u32 s3, s45, s23
	s_add_i32 s49, s0, 1
	s_lshl_b32 s0, s43, 1
	s_add_i32 s50, s40, s0
	s_mul_i32 s0, s43, 3
	s_load_dword s48, s[2:3], 0x0
	s_add_i32 s51, s40, s0
	s_lshl_b32 s0, s43, 2
	s_add_i32 s52, s40, s0
	s_mul_i32 s0, s43, 5
	v_mov_b32_e32 v1, 0
	s_add_i32 s53, s40, s0
	s_mul_i32 s0, s43, 6
	v_mov_b32_e32 v2, v1
	v_mov_b32_e32 v3, v1
	;; [unrolled: 1-line block ×7, first 2 shown]
	s_add_i32 s54, s40, s0
	s_mul_i32 s0, s43, 7
	v_mov_b32_e32 v9, v8
	s_add_i32 s55, s40, s0
	s_add_i32 s56, s40, s43
	v_mov_b32_e32 v25, v1
	v_mov_b32_e32 v26, v1
	;; [unrolled: 1-line block ×19, first 2 shown]
	s_branch .LBB17_3
.LBB17_2:                               ;   in Loop: Header=BB17_3 Depth=1
	s_or_b64 exec, exec, s[4:5]
	s_add_i32 s49, s49, -1
	s_cmp_eq_u32 s49, 0
	v_add_u32_e32 v22, s46, v22
	s_cbranch_scc1 .LBB17_36
.LBB17_3:                               ; =>This Inner Loop Header: Depth=1
	v_cmp_gt_i32_e32 vcc, s47, v22
	v_add_u32_e32 v10, s40, v22
	s_and_saveexec_b64 s[2:3], vcc
	s_cbranch_execz .LBB17_5
; %bb.4:                                ;   in Loop: Header=BB17_3 Depth=1
	v_ashrrev_i32_e32 v11, 31, v10
	v_lshlrev_b64 v[11:12], 2, v[10:11]
	s_waitcnt vmcnt(0)
	v_mov_b32_e32 v2, s42
	v_add_co_u32_e64 v13, s[0:1], s41, v11
	v_addc_co_u32_e64 v14, s[0:1], v2, v12, s[0:1]
	v_mov_b32_e32 v2, s45
	v_add_co_u32_e64 v11, s[0:1], s44, v11
	global_load_dword v13, v[13:14], off
	v_addc_co_u32_e64 v12, s[0:1], v2, v12, s[0:1]
	global_load_dword v2, v[11:12], off
	s_waitcnt vmcnt(1)
	v_mul_f32_e32 v25, v21, v13
.LBB17_5:                               ;   in Loop: Header=BB17_3 Depth=1
	s_or_b64 exec, exec, s[2:3]
	v_add_u32_e32 v13, s43, v22
	v_cmp_gt_i32_e64 s[0:1], s47, v13
	v_add_u32_e32 v11, s56, v22
	s_and_saveexec_b64 s[4:5], s[0:1]
	s_cbranch_execz .LBB17_7
; %bb.6:                                ;   in Loop: Header=BB17_3 Depth=1
	v_ashrrev_i32_e32 v12, 31, v11
	v_lshlrev_b64 v[14:15], 2, v[11:12]
	s_waitcnt vmcnt(0)
	v_mov_b32_e32 v3, s42
	v_add_co_u32_e64 v16, s[2:3], s41, v14
	v_addc_co_u32_e64 v17, s[2:3], v3, v15, s[2:3]
	v_mov_b32_e32 v3, s45
	v_add_co_u32_e64 v14, s[2:3], s44, v14
	global_load_dword v12, v[16:17], off
	v_addc_co_u32_e64 v15, s[2:3], v3, v15, s[2:3]
	global_load_dword v3, v[14:15], off
	s_waitcnt vmcnt(1)
	v_mul_f32_e32 v26, v21, v12
.LBB17_7:                               ;   in Loop: Header=BB17_3 Depth=1
	s_or_b64 exec, exec, s[4:5]
	v_add_u32_e32 v14, s43, v13
	v_cmp_gt_i32_e64 s[2:3], s47, v14
	v_add_u32_e32 v12, s50, v22
	s_and_saveexec_b64 s[8:9], s[2:3]
	;; [unrolled: 21-line block ×3, first 2 shown]
	s_cbranch_execz .LBB17_11
; %bb.10:                               ;   in Loop: Header=BB17_3 Depth=1
	v_ashrrev_i32_e32 v14, 31, v13
	v_lshlrev_b64 v[16:17], 2, v[13:14]
	s_waitcnt vmcnt(0)
	v_mov_b32_e32 v5, s42
	v_add_co_u32_e64 v32, s[8:9], s41, v16
	v_addc_co_u32_e64 v33, s[8:9], v5, v17, s[8:9]
	v_mov_b32_e32 v5, s45
	v_add_co_u32_e64 v16, s[8:9], s44, v16
	global_load_dword v14, v[32:33], off
	v_addc_co_u32_e64 v17, s[8:9], v5, v17, s[8:9]
	global_load_dword v5, v[16:17], off
	s_waitcnt vmcnt(1)
	v_mul_f32_e32 v28, v21, v14
.LBB17_11:                              ;   in Loop: Header=BB17_3 Depth=1
	s_or_b64 exec, exec, s[10:11]
	v_add_u32_e32 v16, s43, v15
	v_cmp_gt_i32_e64 s[8:9], s47, v16
	v_add_u32_e32 v14, s52, v22
	s_and_saveexec_b64 s[12:13], s[8:9]
	s_cbranch_execz .LBB17_13
; %bb.12:                               ;   in Loop: Header=BB17_3 Depth=1
	v_ashrrev_i32_e32 v15, 31, v14
	v_lshlrev_b64 v[32:33], 2, v[14:15]
	s_waitcnt vmcnt(0)
	v_mov_b32_e32 v6, s42
	v_add_co_u32_e64 v34, s[10:11], s41, v32
	v_addc_co_u32_e64 v35, s[10:11], v6, v33, s[10:11]
	v_mov_b32_e32 v6, s45
	v_add_co_u32_e64 v32, s[10:11], s44, v32
	global_load_dword v15, v[34:35], off
	v_addc_co_u32_e64 v33, s[10:11], v6, v33, s[10:11]
	global_load_dword v6, v[32:33], off
	s_waitcnt vmcnt(1)
	v_mul_f32_e32 v29, v21, v15
.LBB17_13:                              ;   in Loop: Header=BB17_3 Depth=1
	s_or_b64 exec, exec, s[12:13]
	v_add_u32_e32 v17, s43, v16
	v_cmp_gt_i32_e64 s[10:11], s47, v17
	v_add_u32_e32 v15, s53, v22
	s_and_saveexec_b64 s[14:15], s[10:11]
	;; [unrolled: 21-line block ×4, first 2 shown]
	s_cbranch_execnz .LBB17_26
; %bb.18:                               ;   in Loop: Header=BB17_3 Depth=1
	s_or_b64 exec, exec, s[18:19]
	s_and_saveexec_b64 s[26:27], vcc
	s_cbranch_execnz .LBB17_27
.LBB17_19:                              ;   in Loop: Header=BB17_3 Depth=1
	s_or_b64 exec, exec, s[26:27]
	s_and_saveexec_b64 s[18:19], s[0:1]
	s_cbranch_execnz .LBB17_28
.LBB17_20:                              ;   in Loop: Header=BB17_3 Depth=1
	s_or_b64 exec, exec, s[18:19]
	s_and_saveexec_b64 s[16:17], s[2:3]
	s_cbranch_execnz .LBB17_29
.LBB17_21:                              ;   in Loop: Header=BB17_3 Depth=1
	s_or_b64 exec, exec, s[16:17]
	s_and_saveexec_b64 s[16:17], s[4:5]
	s_cbranch_execnz .LBB17_30
.LBB17_22:                              ;   in Loop: Header=BB17_3 Depth=1
	s_or_b64 exec, exec, s[16:17]
	s_and_saveexec_b64 s[4:5], s[8:9]
	s_cbranch_execnz .LBB17_31
.LBB17_23:                              ;   in Loop: Header=BB17_3 Depth=1
	s_or_b64 exec, exec, s[4:5]
	s_and_saveexec_b64 s[4:5], s[10:11]
	s_cbranch_execnz .LBB17_32
.LBB17_24:                              ;   in Loop: Header=BB17_3 Depth=1
	s_or_b64 exec, exec, s[4:5]
	s_and_saveexec_b64 s[4:5], s[12:13]
	s_cbranch_execnz .LBB17_33
.LBB17_25:                              ;   in Loop: Header=BB17_3 Depth=1
	s_or_b64 exec, exec, s[4:5]
	s_and_saveexec_b64 s[4:5], s[14:15]
	s_cbranch_execz .LBB17_2
	s_branch .LBB17_34
.LBB17_26:                              ;   in Loop: Header=BB17_3 Depth=1
	v_ashrrev_i32_e32 v18, 31, v17
	v_lshlrev_b64 v[32:33], 2, v[17:18]
	s_waitcnt vmcnt(0)
	v_mov_b32_e32 v9, s42
	v_add_co_u32_e64 v34, s[16:17], s41, v32
	v_addc_co_u32_e64 v35, s[16:17], v9, v33, s[16:17]
	v_mov_b32_e32 v9, s45
	v_add_co_u32_e64 v32, s[16:17], s44, v32
	global_load_dword v18, v[34:35], off
	v_addc_co_u32_e64 v33, s[16:17], v9, v33, s[16:17]
	global_load_dword v9, v[32:33], off
	s_waitcnt vmcnt(1)
	v_mul_f32_e32 v18, v21, v18
	s_or_b64 exec, exec, s[18:19]
	s_and_saveexec_b64 s[26:27], vcc
	s_cbranch_execz .LBB17_19
.LBB17_27:                              ;   in Loop: Header=BB17_3 Depth=1
	v_cmp_u_f32_e32 vcc, v25, v25
	v_addc_co_u32_e32 v1, vcc, 0, v1, vcc
	s_waitcnt vmcnt(0)
	v_cmp_lt_i32_e32 vcc, 0, v2
	v_addc_co_u32_e32 v20, vcc, 0, v20, vcc
	s_waitcnt lgkmcnt(0)
	v_cmp_eq_u32_e64 s[16:17], s48, v2
	v_cmp_lt_f32_e64 s[18:19], v25, v19
	v_cmp_lt_i32_e32 vcc, s48, v2
	s_and_b64 s[18:19], s[16:17], s[18:19]
	s_or_b64 vcc, vcc, s[18:19]
	v_addc_co_u32_e32 v23, vcc, 0, v23, vcc
	v_cmp_eq_f32_e32 vcc, v25, v19
	s_and_b64 s[16:17], s[16:17], vcc
	v_cmp_gt_i32_e32 vcc, s6, v10
	s_and_b64 vcc, s[16:17], vcc
	v_addc_co_u32_e32 v24, vcc, 0, v24, vcc
	s_or_b64 exec, exec, s[26:27]
	s_and_saveexec_b64 s[18:19], s[0:1]
	s_cbranch_execz .LBB17_20
.LBB17_28:                              ;   in Loop: Header=BB17_3 Depth=1
	v_cmp_u_f32_e32 vcc, v26, v26
	v_addc_co_u32_e32 v1, vcc, 0, v1, vcc
	s_waitcnt vmcnt(0)
	v_cmp_lt_i32_e32 vcc, 0, v3
	v_addc_co_u32_e32 v20, vcc, 0, v20, vcc
	s_waitcnt lgkmcnt(0)
	v_cmp_eq_u32_e64 s[0:1], s48, v3
	v_cmp_lt_f32_e64 s[16:17], v26, v19
	v_cmp_lt_i32_e32 vcc, s48, v3
	s_and_b64 s[16:17], s[0:1], s[16:17]
	s_or_b64 vcc, vcc, s[16:17]
	v_addc_co_u32_e32 v23, vcc, 0, v23, vcc
	v_cmp_eq_f32_e32 vcc, v26, v19
	s_and_b64 s[0:1], s[0:1], vcc
	v_cmp_gt_i32_e32 vcc, s6, v11
	s_and_b64 vcc, s[0:1], vcc
	v_addc_co_u32_e32 v24, vcc, 0, v24, vcc
	s_or_b64 exec, exec, s[18:19]
	s_and_saveexec_b64 s[16:17], s[2:3]
	s_cbranch_execz .LBB17_21
.LBB17_29:                              ;   in Loop: Header=BB17_3 Depth=1
	v_cmp_u_f32_e32 vcc, v27, v27
	v_addc_co_u32_e32 v1, vcc, 0, v1, vcc
	s_waitcnt vmcnt(0)
	v_cmp_lt_i32_e32 vcc, 0, v4
	v_addc_co_u32_e32 v20, vcc, 0, v20, vcc
	s_waitcnt lgkmcnt(0)
	v_cmp_eq_u32_e64 s[0:1], s48, v4
	v_cmp_lt_f32_e64 s[2:3], v27, v19
	v_cmp_lt_i32_e32 vcc, s48, v4
	s_and_b64 s[2:3], s[0:1], s[2:3]
	s_or_b64 vcc, vcc, s[2:3]
	v_addc_co_u32_e32 v23, vcc, 0, v23, vcc
	v_cmp_eq_f32_e32 vcc, v27, v19
	s_and_b64 s[0:1], s[0:1], vcc
	v_cmp_gt_i32_e32 vcc, s6, v12
	s_and_b64 vcc, s[0:1], vcc
	v_addc_co_u32_e32 v24, vcc, 0, v24, vcc
	s_or_b64 exec, exec, s[16:17]
	s_and_saveexec_b64 s[16:17], s[4:5]
	s_cbranch_execz .LBB17_22
.LBB17_30:                              ;   in Loop: Header=BB17_3 Depth=1
	v_cmp_u_f32_e32 vcc, v28, v28
	v_addc_co_u32_e32 v1, vcc, 0, v1, vcc
	s_waitcnt vmcnt(0)
	v_cmp_lt_i32_e32 vcc, 0, v5
	v_addc_co_u32_e32 v20, vcc, 0, v20, vcc
	s_waitcnt lgkmcnt(0)
	v_cmp_eq_u32_e64 s[0:1], s48, v5
	v_cmp_lt_f32_e64 s[2:3], v28, v19
	v_cmp_lt_i32_e32 vcc, s48, v5
	s_and_b64 s[2:3], s[0:1], s[2:3]
	s_or_b64 vcc, vcc, s[2:3]
	v_addc_co_u32_e32 v23, vcc, 0, v23, vcc
	v_cmp_eq_f32_e32 vcc, v28, v19
	s_and_b64 s[0:1], s[0:1], vcc
	v_cmp_gt_i32_e32 vcc, s6, v13
	s_and_b64 vcc, s[0:1], vcc
	v_addc_co_u32_e32 v24, vcc, 0, v24, vcc
	s_or_b64 exec, exec, s[16:17]
	s_and_saveexec_b64 s[4:5], s[8:9]
	s_cbranch_execz .LBB17_23
.LBB17_31:                              ;   in Loop: Header=BB17_3 Depth=1
	v_cmp_u_f32_e32 vcc, v29, v29
	v_addc_co_u32_e32 v1, vcc, 0, v1, vcc
	s_waitcnt vmcnt(0)
	v_cmp_lt_i32_e32 vcc, 0, v6
	v_addc_co_u32_e32 v20, vcc, 0, v20, vcc
	s_waitcnt lgkmcnt(0)
	v_cmp_eq_u32_e64 s[0:1], s48, v6
	v_cmp_lt_f32_e64 s[2:3], v29, v19
	v_cmp_lt_i32_e32 vcc, s48, v6
	s_and_b64 s[2:3], s[0:1], s[2:3]
	s_or_b64 vcc, vcc, s[2:3]
	v_addc_co_u32_e32 v23, vcc, 0, v23, vcc
	v_cmp_eq_f32_e32 vcc, v29, v19
	s_and_b64 s[0:1], s[0:1], vcc
	v_cmp_gt_i32_e32 vcc, s6, v14
	s_and_b64 vcc, s[0:1], vcc
	v_addc_co_u32_e32 v24, vcc, 0, v24, vcc
	s_or_b64 exec, exec, s[4:5]
	s_and_saveexec_b64 s[4:5], s[10:11]
	s_cbranch_execz .LBB17_24
.LBB17_32:                              ;   in Loop: Header=BB17_3 Depth=1
	v_cmp_u_f32_e32 vcc, v30, v30
	v_addc_co_u32_e32 v1, vcc, 0, v1, vcc
	s_waitcnt vmcnt(0)
	v_cmp_lt_i32_e32 vcc, 0, v7
	v_addc_co_u32_e32 v20, vcc, 0, v20, vcc
	s_waitcnt lgkmcnt(0)
	v_cmp_eq_u32_e64 s[0:1], s48, v7
	v_cmp_lt_f32_e64 s[2:3], v30, v19
	v_cmp_lt_i32_e32 vcc, s48, v7
	s_and_b64 s[2:3], s[0:1], s[2:3]
	s_or_b64 vcc, vcc, s[2:3]
	v_addc_co_u32_e32 v23, vcc, 0, v23, vcc
	v_cmp_eq_f32_e32 vcc, v30, v19
	s_and_b64 s[0:1], s[0:1], vcc
	v_cmp_gt_i32_e32 vcc, s6, v15
	s_and_b64 vcc, s[0:1], vcc
	v_addc_co_u32_e32 v24, vcc, 0, v24, vcc
	s_or_b64 exec, exec, s[4:5]
	s_and_saveexec_b64 s[4:5], s[12:13]
	s_cbranch_execz .LBB17_25
.LBB17_33:                              ;   in Loop: Header=BB17_3 Depth=1
	v_cmp_u_f32_e32 vcc, v31, v31
	v_addc_co_u32_e32 v1, vcc, 0, v1, vcc
	s_waitcnt vmcnt(0)
	v_cmp_lt_i32_e32 vcc, 0, v8
	v_addc_co_u32_e32 v20, vcc, 0, v20, vcc
	s_waitcnt lgkmcnt(0)
	v_cmp_eq_u32_e64 s[0:1], s48, v8
	v_cmp_lt_f32_e64 s[2:3], v31, v19
	v_cmp_lt_i32_e32 vcc, s48, v8
	s_and_b64 s[2:3], s[0:1], s[2:3]
	s_or_b64 vcc, vcc, s[2:3]
	v_addc_co_u32_e32 v23, vcc, 0, v23, vcc
	v_cmp_eq_f32_e32 vcc, v31, v19
	s_and_b64 s[0:1], s[0:1], vcc
	v_cmp_gt_i32_e32 vcc, s6, v16
	s_and_b64 vcc, s[0:1], vcc
	v_addc_co_u32_e32 v24, vcc, 0, v24, vcc
	s_or_b64 exec, exec, s[4:5]
	s_and_saveexec_b64 s[4:5], s[14:15]
	s_cbranch_execz .LBB17_2
.LBB17_34:                              ;   in Loop: Header=BB17_3 Depth=1
	v_cmp_u_f32_e32 vcc, v18, v18
	v_addc_co_u32_e32 v1, vcc, 0, v1, vcc
	s_waitcnt vmcnt(0)
	v_cmp_lt_i32_e32 vcc, 0, v9
	v_addc_co_u32_e32 v20, vcc, 0, v20, vcc
	s_waitcnt lgkmcnt(0)
	v_cmp_eq_u32_e64 s[0:1], s48, v9
	v_cmp_lt_f32_e64 s[2:3], v18, v19
	v_cmp_lt_i32_e32 vcc, s48, v9
	s_and_b64 s[2:3], s[0:1], s[2:3]
	s_or_b64 vcc, vcc, s[2:3]
	v_addc_co_u32_e32 v23, vcc, 0, v23, vcc
	v_cmp_eq_f32_e32 vcc, v18, v19
	s_and_b64 s[0:1], s[0:1], vcc
	v_cmp_gt_i32_e32 vcc, s6, v17
	s_and_b64 vcc, s[0:1], vcc
	v_addc_co_u32_e32 v24, vcc, 0, v24, vcc
	s_branch .LBB17_2
.LBB17_35:
	s_mov_b64 s[0:1], -1
	v_mov_b32_e32 v2, 0
	v_mov_b32_e32 v20, 0
	s_branch .LBB17_37
.LBB17_36:
	s_waitcnt vmcnt(0)
	v_add_u32_e32 v2, v23, v24
	v_cmp_eq_u32_e64 s[0:1], 0, v1
.LBB17_37:
	v_lshlrev_b32_e32 v1, 2, v0
	s_cmp_lt_u32 s43, 2
	ds_write2st64_b32 v1, v20, v2 offset1:8
	s_waitcnt lgkmcnt(0)
	s_barrier
	s_cbranch_scc1 .LBB17_42
; %bb.38:
	v_or_b32_e32 v3, 0x800, v1
	s_lshr_b32 s4, s43, 1
	v_cmp_gt_u32_e32 vcc, s4, v0
	s_and_saveexec_b64 s[2:3], vcc
	s_cbranch_execz .LBB17_40
.LBB17_39:
	s_lshl_b32 s5, s4, 2
	v_add_u32_e32 v4, s5, v3
	v_add_u32_e32 v5, s5, v1
	ds_read_b32 v4, v4
	ds_read_b32 v5, v5
	s_waitcnt lgkmcnt(1)
	v_add_u32_e32 v2, v4, v2
	s_waitcnt lgkmcnt(0)
	v_add_u32_e32 v20, v5, v20
	ds_write_b32 v3, v2
	ds_write_b32 v1, v20
.LBB17_40:                              ; =>This Inner Loop Header: Depth=1
	s_or_b64 exec, exec, s[2:3]
	s_cmp_gt_u32 s43, 3
	s_waitcnt lgkmcnt(0)
	s_barrier
	s_cbranch_scc0 .LBB17_42
; %bb.41:                               ;   in Loop: Header=BB17_40 Depth=1
	s_mov_b32 s43, s4
	s_lshr_b32 s4, s43, 1
	v_cmp_gt_u32_e32 vcc, s4, v0
	s_and_saveexec_b64 s[2:3], vcc
	s_cbranch_execnz .LBB17_39
	s_branch .LBB17_40
.LBB17_42:
	s_xor_b64 s[0:1], s[0:1], -1
	v_cmp_eq_u32_e32 vcc, 0, v0
	s_and_saveexec_b64 s[2:3], vcc
	s_cbranch_execz .LBB17_44
; %bb.43:
	v_add_u32_e32 v0, s40, v2
	v_ashrrev_i32_e32 v1, 31, v0
	s_add_u32 s8, s35, s24
	v_lshlrev_b64 v[0:1], 2, v[0:1]
	s_addc_u32 s9, s36, s25
	v_mov_b32_e32 v3, s9
	v_add_co_u32_e32 v2, vcc, s8, v0
	v_addc_co_u32_e32 v3, vcc, v3, v1, vcc
	global_store_dword v[2:3], v20, off
	v_mov_b32_e32 v3, s31
	v_add_co_u32_e32 v2, vcc, s30, v0
	s_lshl_b64 s[4:5], s[20:21], 5
	v_addc_co_u32_e32 v3, vcc, v3, v1, vcc
	v_mov_b32_e32 v4, s6
	s_sub_u32 s4, 0, s4
	global_store_dword v[2:3], v4, off
	v_mov_b32_e32 v3, s29
	v_add_co_u32_e32 v2, vcc, s28, v0
	s_subb_u32 s5, 0, s5
	v_addc_co_u32_e32 v3, vcc, v3, v1, vcc
	s_add_u32 s4, s37, s4
	global_store_dword v[2:3], v19, off
	v_mov_b32_e32 v3, s34
	v_add_co_u32_e32 v2, vcc, s33, v0
	s_addc_u32 s5, s38, s5
	v_addc_co_u32_e32 v3, vcc, v3, v1, vcc
	v_mov_b32_e32 v4, s39
	global_store_dword v[2:3], v4, off
	v_mov_b32_e32 v2, s5
	v_add_co_u32_e32 v0, vcc, s4, v0
	v_addc_co_u32_e32 v1, vcc, v2, v1, vcc
	v_mov_b32_e32 v2, s7
	global_store_dword v[0:1], v2, off
.LBB17_44:
	s_or_b64 exec, exec, s[2:3]
	s_waitcnt vmcnt(0)
	s_barrier
	s_and_saveexec_b64 s[2:3], s[0:1]
	s_cbranch_execz .LBB17_46
; %bb.45:
	s_add_u32 s0, s28, s22
	s_addc_u32 s1, s29, s23
	v_mov_b32_e32 v0, 0
	v_mov_b32_e32 v1, 0x7fc00000
	global_store_dword v0, v1, s[0:1]
.LBB17_46:
	s_endpgm
	.section	.rodata,"a",@progbits
	.p2align	6, 0x0
	.amdhsa_kernel _ZN9rocsolver6v33100L31stedc_mergeValues_SortDZ_kernelIfEEviiPT_lS3_Pi
		.amdhsa_group_segment_fixed_size 4096
		.amdhsa_private_segment_fixed_size 0
		.amdhsa_kernarg_size 296
		.amdhsa_user_sgpr_count 6
		.amdhsa_user_sgpr_private_segment_buffer 1
		.amdhsa_user_sgpr_dispatch_ptr 0
		.amdhsa_user_sgpr_queue_ptr 0
		.amdhsa_user_sgpr_kernarg_segment_ptr 1
		.amdhsa_user_sgpr_dispatch_id 0
		.amdhsa_user_sgpr_flat_scratch_init 0
		.amdhsa_user_sgpr_private_segment_size 0
		.amdhsa_uses_dynamic_stack 0
		.amdhsa_system_sgpr_private_segment_wavefront_offset 0
		.amdhsa_system_sgpr_workgroup_id_x 1
		.amdhsa_system_sgpr_workgroup_id_y 1
		.amdhsa_system_sgpr_workgroup_id_z 0
		.amdhsa_system_sgpr_workgroup_info 0
		.amdhsa_system_vgpr_workitem_id 0
		.amdhsa_next_free_vgpr 37
		.amdhsa_next_free_sgpr 57
		.amdhsa_reserve_vcc 1
		.amdhsa_reserve_flat_scratch 0
		.amdhsa_float_round_mode_32 0
		.amdhsa_float_round_mode_16_64 0
		.amdhsa_float_denorm_mode_32 3
		.amdhsa_float_denorm_mode_16_64 3
		.amdhsa_dx10_clamp 1
		.amdhsa_ieee_mode 1
		.amdhsa_fp16_overflow 0
		.amdhsa_exception_fp_ieee_invalid_op 0
		.amdhsa_exception_fp_denorm_src 0
		.amdhsa_exception_fp_ieee_div_zero 0
		.amdhsa_exception_fp_ieee_overflow 0
		.amdhsa_exception_fp_ieee_underflow 0
		.amdhsa_exception_fp_ieee_inexact 0
		.amdhsa_exception_int_div_zero 0
	.end_amdhsa_kernel
	.section	.text._ZN9rocsolver6v33100L31stedc_mergeValues_SortDZ_kernelIfEEviiPT_lS3_Pi,"axG",@progbits,_ZN9rocsolver6v33100L31stedc_mergeValues_SortDZ_kernelIfEEviiPT_lS3_Pi,comdat
.Lfunc_end17:
	.size	_ZN9rocsolver6v33100L31stedc_mergeValues_SortDZ_kernelIfEEviiPT_lS3_Pi, .Lfunc_end17-_ZN9rocsolver6v33100L31stedc_mergeValues_SortDZ_kernelIfEEviiPT_lS3_Pi
                                        ; -- End function
	.set _ZN9rocsolver6v33100L31stedc_mergeValues_SortDZ_kernelIfEEviiPT_lS3_Pi.num_vgpr, 37
	.set _ZN9rocsolver6v33100L31stedc_mergeValues_SortDZ_kernelIfEEviiPT_lS3_Pi.num_agpr, 0
	.set _ZN9rocsolver6v33100L31stedc_mergeValues_SortDZ_kernelIfEEviiPT_lS3_Pi.numbered_sgpr, 57
	.set _ZN9rocsolver6v33100L31stedc_mergeValues_SortDZ_kernelIfEEviiPT_lS3_Pi.num_named_barrier, 0
	.set _ZN9rocsolver6v33100L31stedc_mergeValues_SortDZ_kernelIfEEviiPT_lS3_Pi.private_seg_size, 0
	.set _ZN9rocsolver6v33100L31stedc_mergeValues_SortDZ_kernelIfEEviiPT_lS3_Pi.uses_vcc, 1
	.set _ZN9rocsolver6v33100L31stedc_mergeValues_SortDZ_kernelIfEEviiPT_lS3_Pi.uses_flat_scratch, 0
	.set _ZN9rocsolver6v33100L31stedc_mergeValues_SortDZ_kernelIfEEviiPT_lS3_Pi.has_dyn_sized_stack, 0
	.set _ZN9rocsolver6v33100L31stedc_mergeValues_SortDZ_kernelIfEEviiPT_lS3_Pi.has_recursion, 0
	.set _ZN9rocsolver6v33100L31stedc_mergeValues_SortDZ_kernelIfEEviiPT_lS3_Pi.has_indirect_call, 0
	.section	.AMDGPU.csdata,"",@progbits
; Kernel info:
; codeLenInByte = 2740
; TotalNumSgprs: 61
; NumVgprs: 37
; ScratchSize: 0
; MemoryBound: 0
; FloatMode: 240
; IeeeMode: 1
; LDSByteSize: 4096 bytes/workgroup (compile time only)
; SGPRBlocks: 7
; VGPRBlocks: 9
; NumSGPRsForWavesPerEU: 61
; NumVGPRsForWavesPerEU: 37
; Occupancy: 6
; WaveLimiterHint : 1
; COMPUTE_PGM_RSRC2:SCRATCH_EN: 0
; COMPUTE_PGM_RSRC2:USER_SGPR: 6
; COMPUTE_PGM_RSRC2:TRAP_HANDLER: 0
; COMPUTE_PGM_RSRC2:TGID_X_EN: 1
; COMPUTE_PGM_RSRC2:TGID_Y_EN: 1
; COMPUTE_PGM_RSRC2:TGID_Z_EN: 0
; COMPUTE_PGM_RSRC2:TIDIG_COMP_CNT: 0
	.section	.text._ZN9rocsolver6v33100L30stedc_mergeValues_copyD_kernelIfEEviiPT_lS3_S3_Pi,"axG",@progbits,_ZN9rocsolver6v33100L30stedc_mergeValues_copyD_kernelIfEEviiPT_lS3_S3_Pi,comdat
	.globl	_ZN9rocsolver6v33100L30stedc_mergeValues_copyD_kernelIfEEviiPT_lS3_S3_Pi ; -- Begin function _ZN9rocsolver6v33100L30stedc_mergeValues_copyD_kernelIfEEviiPT_lS3_S3_Pi
	.p2align	8
	.type	_ZN9rocsolver6v33100L30stedc_mergeValues_copyD_kernelIfEEviiPT_lS3_S3_Pi,@function
_ZN9rocsolver6v33100L30stedc_mergeValues_copyD_kernelIfEEviiPT_lS3_S3_Pi: ; @_ZN9rocsolver6v33100L30stedc_mergeValues_copyD_kernelIfEEviiPT_lS3_S3_Pi
; %bb.0:
	s_load_dword s2, s[4:5], 0x4
	s_load_dwordx8 s[8:15], s[4:5], 0x8
	s_load_dwordx2 s[16:17], s[4:5], 0x28
	s_load_dword s20, s[4:5], 0x3c
	s_mov_b32 s0, s7
	s_waitcnt lgkmcnt(0)
	s_mul_i32 s1, s2, s7
	s_mul_i32 s4, s1, 13
	s_ashr_i32 s5, s4, 31
	s_lshl_b64 s[4:5], s[4:5], 2
	s_add_u32 s3, s16, s4
	s_mul_i32 s4, s2, 7
	s_addc_u32 s7, s17, s5
	s_ashr_i32 s5, s4, 31
	s_lshl_b64 s[4:5], s[4:5], 2
	s_add_u32 s18, s3, s4
	s_addc_u32 s19, s7, s5
	s_ashr_i32 s3, s2, 31
	s_lshl_b64 s[16:17], s[2:3], 2
	s_sub_u32 s3, 0, s16
	s_subb_u32 s7, 0, s17
	s_add_u32 s21, s18, s3
	s_mul_i32 s16, s1, 10
	s_addc_u32 s22, s19, s7
	s_ashr_i32 s17, s16, 31
	s_lshl_b64 s[16:17], s[16:17], 2
	s_add_u32 s3, s12, s16
	s_addc_u32 s7, s13, s17
	s_add_u32 s3, s3, s4
	s_addc_u32 s16, s7, s5
	s_ashr_i32 s7, s6, 31
	s_lshl_b64 s[4:5], s[6:7], 2
	s_add_u32 s18, s18, s4
	s_addc_u32 s19, s19, s5
	s_add_u32 s4, s21, s4
	s_addc_u32 s5, s22, s5
	s_load_dword s7, s[18:19], 0x0
	s_load_dword s12, s[4:5], 0x0
	s_and_b32 s13, s20, 0xffff
	s_mul_i32 s4, s6, s13
	v_add_u32_e32 v1, s4, v0
	v_cmp_gt_i32_e32 vcc, s2, v1
	s_and_saveexec_b64 s[4:5], vcc
	s_cbranch_execz .LBB18_2
; %bb.1:
	s_mul_i32 s18, s2, 0xffffffe8
	v_ashrrev_i32_e32 v2, 31, v1
	s_mul_hi_i32 s17, s2, 0xffffffe8
	s_add_u32 s18, s3, s18
	v_lshlrev_b64 v[1:2], 2, v[1:2]
	s_addc_u32 s17, s16, s17
	v_mov_b32_e32 v4, s17
	v_add_co_u32_e32 v3, vcc, s18, v1
	v_addc_co_u32_e32 v4, vcc, v4, v2, vcc
	global_load_dword v3, v[3:4], off
	s_ashr_i32 s17, s0, 31
	s_mul_hi_u32 s18, s10, s0
	s_mul_i32 s17, s10, s17
	s_add_i32 s17, s18, s17
	s_mul_i32 s11, s11, s0
	s_add_i32 s11, s17, s11
	s_mul_i32 s10, s10, s0
	s_lshl_b64 s[10:11], s[10:11], 2
	s_add_u32 s0, s8, s10
	s_addc_u32 s8, s9, s11
	v_mov_b32_e32 v4, s8
	v_add_co_u32_e32 v1, vcc, s0, v1
	v_addc_co_u32_e32 v2, vcc, v4, v2, vcc
	s_waitcnt vmcnt(0)
	global_store_dword v[1:2], v3, off
.LBB18_2:
	s_or_b64 exec, exec, s[4:5]
	s_waitcnt lgkmcnt(0)
	v_cmp_gt_i32_e32 vcc, s7, v0
	s_and_saveexec_b64 s[4:5], vcc
	s_cbranch_execz .LBB18_5
; %bb.3:
	s_mul_i32 s1, s1, s2
	s_lshl_b32 s0, s1, 1
	s_ashr_i32 s1, s0, 31
	s_lshl_b64 s[0:1], s[0:1], 2
	s_add_u32 s4, s14, s0
	s_addc_u32 s5, s15, s1
	s_mul_i32 s0, s2, s2
	s_mov_b32 s1, 0
	s_lshl_b64 s[0:1], s[0:1], 2
	s_add_u32 s4, s4, s0
	s_addc_u32 s5, s5, s1
	s_mul_i32 s2, s2, s6
	s_mov_b64 s[0:1], 0
	v_mov_b32_e32 v1, s16
	v_mov_b32_e32 v2, s5
.LBB18_4:                               ; =>This Inner Loop Header: Depth=1
	v_add_u32_e32 v3, s12, v0
	v_ashrrev_i32_e32 v4, 31, v3
	v_lshlrev_b64 v[3:4], 2, v[3:4]
	v_add_co_u32_e32 v3, vcc, s3, v3
	v_addc_co_u32_e32 v4, vcc, v1, v4, vcc
	global_load_dword v5, v[3:4], off
	v_add_u32_e32 v3, s2, v0
	v_ashrrev_i32_e32 v4, 31, v3
	v_add_u32_e32 v0, s13, v0
	v_lshlrev_b64 v[3:4], 2, v[3:4]
	v_cmp_le_i32_e32 vcc, s7, v0
	s_or_b64 s[0:1], vcc, s[0:1]
	v_add_co_u32_e32 v3, vcc, s4, v3
	v_addc_co_u32_e32 v4, vcc, v2, v4, vcc
	s_waitcnt vmcnt(0)
	global_store_dword v[3:4], v5, off
	s_andn2_b64 exec, exec, s[0:1]
	s_cbranch_execnz .LBB18_4
.LBB18_5:
	s_endpgm
	.section	.rodata,"a",@progbits
	.p2align	6, 0x0
	.amdhsa_kernel _ZN9rocsolver6v33100L30stedc_mergeValues_copyD_kernelIfEEviiPT_lS3_S3_Pi
		.amdhsa_group_segment_fixed_size 0
		.amdhsa_private_segment_fixed_size 0
		.amdhsa_kernarg_size 304
		.amdhsa_user_sgpr_count 6
		.amdhsa_user_sgpr_private_segment_buffer 1
		.amdhsa_user_sgpr_dispatch_ptr 0
		.amdhsa_user_sgpr_queue_ptr 0
		.amdhsa_user_sgpr_kernarg_segment_ptr 1
		.amdhsa_user_sgpr_dispatch_id 0
		.amdhsa_user_sgpr_flat_scratch_init 0
		.amdhsa_user_sgpr_private_segment_size 0
		.amdhsa_uses_dynamic_stack 0
		.amdhsa_system_sgpr_private_segment_wavefront_offset 0
		.amdhsa_system_sgpr_workgroup_id_x 1
		.amdhsa_system_sgpr_workgroup_id_y 1
		.amdhsa_system_sgpr_workgroup_id_z 0
		.amdhsa_system_sgpr_workgroup_info 0
		.amdhsa_system_vgpr_workitem_id 0
		.amdhsa_next_free_vgpr 6
		.amdhsa_next_free_sgpr 23
		.amdhsa_reserve_vcc 1
		.amdhsa_reserve_flat_scratch 0
		.amdhsa_float_round_mode_32 0
		.amdhsa_float_round_mode_16_64 0
		.amdhsa_float_denorm_mode_32 3
		.amdhsa_float_denorm_mode_16_64 3
		.amdhsa_dx10_clamp 1
		.amdhsa_ieee_mode 1
		.amdhsa_fp16_overflow 0
		.amdhsa_exception_fp_ieee_invalid_op 0
		.amdhsa_exception_fp_denorm_src 0
		.amdhsa_exception_fp_ieee_div_zero 0
		.amdhsa_exception_fp_ieee_overflow 0
		.amdhsa_exception_fp_ieee_underflow 0
		.amdhsa_exception_fp_ieee_inexact 0
		.amdhsa_exception_int_div_zero 0
	.end_amdhsa_kernel
	.section	.text._ZN9rocsolver6v33100L30stedc_mergeValues_copyD_kernelIfEEviiPT_lS3_S3_Pi,"axG",@progbits,_ZN9rocsolver6v33100L30stedc_mergeValues_copyD_kernelIfEEviiPT_lS3_S3_Pi,comdat
.Lfunc_end18:
	.size	_ZN9rocsolver6v33100L30stedc_mergeValues_copyD_kernelIfEEviiPT_lS3_S3_Pi, .Lfunc_end18-_ZN9rocsolver6v33100L30stedc_mergeValues_copyD_kernelIfEEviiPT_lS3_S3_Pi
                                        ; -- End function
	.set _ZN9rocsolver6v33100L30stedc_mergeValues_copyD_kernelIfEEviiPT_lS3_S3_Pi.num_vgpr, 6
	.set _ZN9rocsolver6v33100L30stedc_mergeValues_copyD_kernelIfEEviiPT_lS3_S3_Pi.num_agpr, 0
	.set _ZN9rocsolver6v33100L30stedc_mergeValues_copyD_kernelIfEEviiPT_lS3_S3_Pi.numbered_sgpr, 23
	.set _ZN9rocsolver6v33100L30stedc_mergeValues_copyD_kernelIfEEviiPT_lS3_S3_Pi.num_named_barrier, 0
	.set _ZN9rocsolver6v33100L30stedc_mergeValues_copyD_kernelIfEEviiPT_lS3_S3_Pi.private_seg_size, 0
	.set _ZN9rocsolver6v33100L30stedc_mergeValues_copyD_kernelIfEEviiPT_lS3_S3_Pi.uses_vcc, 1
	.set _ZN9rocsolver6v33100L30stedc_mergeValues_copyD_kernelIfEEviiPT_lS3_S3_Pi.uses_flat_scratch, 0
	.set _ZN9rocsolver6v33100L30stedc_mergeValues_copyD_kernelIfEEviiPT_lS3_S3_Pi.has_dyn_sized_stack, 0
	.set _ZN9rocsolver6v33100L30stedc_mergeValues_copyD_kernelIfEEviiPT_lS3_S3_Pi.has_recursion, 0
	.set _ZN9rocsolver6v33100L30stedc_mergeValues_copyD_kernelIfEEviiPT_lS3_S3_Pi.has_indirect_call, 0
	.section	.AMDGPU.csdata,"",@progbits
; Kernel info:
; codeLenInByte = 496
; TotalNumSgprs: 27
; NumVgprs: 6
; ScratchSize: 0
; MemoryBound: 0
; FloatMode: 240
; IeeeMode: 1
; LDSByteSize: 0 bytes/workgroup (compile time only)
; SGPRBlocks: 3
; VGPRBlocks: 1
; NumSGPRsForWavesPerEU: 27
; NumVGPRsForWavesPerEU: 6
; Occupancy: 10
; WaveLimiterHint : 1
; COMPUTE_PGM_RSRC2:SCRATCH_EN: 0
; COMPUTE_PGM_RSRC2:USER_SGPR: 6
; COMPUTE_PGM_RSRC2:TRAP_HANDLER: 0
; COMPUTE_PGM_RSRC2:TGID_X_EN: 1
; COMPUTE_PGM_RSRC2:TGID_Y_EN: 1
; COMPUTE_PGM_RSRC2:TGID_Z_EN: 0
; COMPUTE_PGM_RSRC2:TIDIG_COMP_CNT: 0
	.section	.text._ZN9rocsolver6v33100L11stedc_copyCIfPfS2_EEviT0_iilT1_iil,"axG",@progbits,_ZN9rocsolver6v33100L11stedc_copyCIfPfS2_EEviT0_iilT1_iil,comdat
	.globl	_ZN9rocsolver6v33100L11stedc_copyCIfPfS2_EEviT0_iilT1_iil ; -- Begin function _ZN9rocsolver6v33100L11stedc_copyCIfPfS2_EEviT0_iilT1_iil
	.p2align	8
	.type	_ZN9rocsolver6v33100L11stedc_copyCIfPfS2_EEviT0_iilT1_iil,@function
_ZN9rocsolver6v33100L11stedc_copyCIfPfS2_EEviT0_iilT1_iil: ; @_ZN9rocsolver6v33100L11stedc_copyCIfPfS2_EEviT0_iilT1_iil
; %bb.0:
	s_load_dword s0, s[4:5], 0x44
	s_load_dword s37, s[4:5], 0x0
	s_waitcnt lgkmcnt(0)
	s_and_b32 s33, s0, 0xffff
	s_lshl_b32 s36, s33, 4
	v_cvt_f32_u32_e32 v1, s36
	s_sub_i32 s2, 0, s36
	s_add_i32 s0, s37, -1
	s_ashr_i32 s1, s0, 31
	v_rcp_iflag_f32_e32 v1, v1
	s_abs_i32 s0, s0
	v_mul_f32_e32 v1, 0x4f7ffffe, v1
	v_cvt_u32_f32_e32 v1, v1
	v_readfirstlane_b32 s3, v1
	s_mul_i32 s2, s2, s3
	s_mul_hi_u32 s2, s3, s2
	s_add_i32 s3, s3, s2
	s_mul_hi_u32 s2, s0, s3
	s_mul_i32 s3, s2, s36
	s_sub_i32 s0, s0, s3
	s_add_i32 s8, s2, 1
	s_sub_i32 s3, s0, s36
	s_cmp_ge_u32 s0, s36
	s_cselect_b32 s2, s8, s2
	s_cselect_b32 s0, s3, s0
	s_add_i32 s3, s2, 1
	s_cmp_ge_u32 s0, s36
	s_cselect_b32 s0, s3, s2
	s_xor_b32 s0, s0, s1
	s_sub_i32 s16, s0, s1
	s_cmp_lt_i32 s16, 0
	s_cbranch_scc1 .LBB19_67
; %bb.1:
	s_load_dwordx8 s[8:15], s[4:5], 0x8
	s_load_dwordx4 s[0:3], s[4:5], 0x28
	s_ashr_i32 s17, s7, 31
	v_mov_b32_e32 v32, 0
	s_mul_i32 s44, s33, 3
	s_waitcnt lgkmcnt(0)
	s_ashr_i32 s5, s10, 31
	s_mov_b32 s4, s10
	s_mul_hi_u32 s10, s12, s7
	s_mul_i32 s18, s12, s17
	s_add_i32 s10, s10, s18
	s_mul_i32 s13, s13, s7
	s_add_i32 s13, s10, s13
	s_mul_i32 s12, s12, s7
	s_lshl_b64 s[12:13], s[12:13], 2
	s_add_u32 s8, s8, s12
	s_addc_u32 s9, s9, s13
	s_lshl_b64 s[4:5], s[4:5], 2
	s_add_u32 s8, s8, s4
	s_addc_u32 s9, s9, s5
	s_ashr_i32 s5, s0, 31
	s_mov_b32 s4, s0
	s_mul_hi_u32 s0, s2, s7
	s_mul_i32 s10, s2, s17
	s_add_i32 s0, s0, s10
	s_mul_i32 s3, s3, s7
	s_add_i32 s3, s0, s3
	s_mul_i32 s2, s2, s7
	s_lshl_b64 s[2:3], s[2:3], 2
	s_add_u32 s0, s14, s2
	s_addc_u32 s7, s15, s3
	s_lshl_b64 s[2:3], s[4:5], 2
	s_add_u32 s4, s0, s2
	s_mul_i32 s2, s11, s6
	s_addc_u32 s5, s7, s3
	s_ashr_i32 s3, s2, 31
	s_lshl_b64 s[2:3], s[2:3], 2
	s_add_u32 s38, s8, s2
	s_mul_i32 s0, s1, s6
	s_addc_u32 s39, s9, s3
	s_ashr_i32 s1, s0, 31
	s_lshl_b64 s[0:1], s[0:1], 2
	s_add_u32 s40, s4, s0
	s_addc_u32 s41, s5, s1
	s_add_i32 s42, s16, 1
	s_lshl_b32 s43, s33, 1
	s_lshl_b32 s45, s33, 2
	s_mul_i32 s46, s33, 5
	s_mul_i32 s47, s33, 6
	;; [unrolled: 1-line block ×3, first 2 shown]
	s_lshl_b32 s49, s33, 3
	s_mul_i32 s50, s33, 9
	s_mul_i32 s51, s33, 10
	s_mul_i32 s52, s33, 11
	s_mul_i32 s53, s33, 12
	s_mul_i32 s54, s33, 13
	s_mul_i32 s55, s33, 14
	s_mul_i32 s56, s33, 15
	v_mov_b32_e32 v33, v32
	v_mov_b32_e32 v34, v32
	;; [unrolled: 1-line block ×15, first 2 shown]
	s_branch .LBB19_3
.LBB19_2:                               ;   in Loop: Header=BB19_3 Depth=1
	s_or_b64 exec, exec, s[0:1]
	s_add_i32 s42, s42, -1
	s_cmp_eq_u32 s42, 0
	v_add_u32_e32 v0, s36, v0
	s_cbranch_scc1 .LBB19_67
.LBB19_3:                               ; =>This Inner Loop Header: Depth=1
	v_cmp_gt_i32_e32 vcc, s37, v0
	v_ashrrev_i32_e32 v1, 31, v0
	s_and_saveexec_b64 s[2:3], vcc
	s_cbranch_execz .LBB19_5
; %bb.4:                                ;   in Loop: Header=BB19_3 Depth=1
	v_lshlrev_b64 v[2:3], 2, v[0:1]
	v_mov_b32_e32 v4, s39
	v_add_co_u32_e64 v2, s[0:1], s38, v2
	v_addc_co_u32_e64 v3, s[0:1], v4, v3, s[0:1]
	global_load_dword v32, v[2:3], off
.LBB19_5:                               ;   in Loop: Header=BB19_3 Depth=1
	s_or_b64 exec, exec, s[2:3]
	v_add_u32_e32 v2, s33, v0
	v_cmp_gt_i32_e64 s[0:1], s37, v2
	v_ashrrev_i32_e32 v3, 31, v2
	s_and_saveexec_b64 s[4:5], s[0:1]
	s_cbranch_execz .LBB19_7
; %bb.6:                                ;   in Loop: Header=BB19_3 Depth=1
	v_lshlrev_b64 v[4:5], 2, v[2:3]
	v_mov_b32_e32 v6, s39
	v_add_co_u32_e64 v4, s[2:3], s38, v4
	v_addc_co_u32_e64 v5, s[2:3], v6, v5, s[2:3]
	global_load_dword v33, v[4:5], off
.LBB19_7:                               ;   in Loop: Header=BB19_3 Depth=1
	s_or_b64 exec, exec, s[4:5]
	v_add_u32_e32 v4, s43, v0
	v_add_u32_e32 v7, s33, v2
	v_cmp_gt_i32_e64 s[2:3], s37, v7
	v_ashrrev_i32_e32 v5, 31, v4
	s_and_saveexec_b64 s[6:7], s[2:3]
	s_cbranch_execz .LBB19_9
; %bb.8:                                ;   in Loop: Header=BB19_3 Depth=1
	v_lshlrev_b64 v[8:9], 2, v[4:5]
	v_mov_b32_e32 v6, s39
	v_add_co_u32_e64 v8, s[4:5], s38, v8
	v_addc_co_u32_e64 v9, s[4:5], v6, v9, s[4:5]
	global_load_dword v34, v[8:9], off
.LBB19_9:                               ;   in Loop: Header=BB19_3 Depth=1
	s_or_b64 exec, exec, s[6:7]
	v_add_u32_e32 v6, s44, v0
	v_add_u32_e32 v9, s33, v7
	v_cmp_gt_i32_e64 s[4:5], s37, v9
	v_ashrrev_i32_e32 v7, 31, v6
	s_and_saveexec_b64 s[8:9], s[4:5]
	s_cbranch_execz .LBB19_11
; %bb.10:                               ;   in Loop: Header=BB19_3 Depth=1
	v_lshlrev_b64 v[10:11], 2, v[6:7]
	v_mov_b32_e32 v8, s39
	v_add_co_u32_e64 v10, s[6:7], s38, v10
	v_addc_co_u32_e64 v11, s[6:7], v8, v11, s[6:7]
	global_load_dword v35, v[10:11], off
.LBB19_11:                              ;   in Loop: Header=BB19_3 Depth=1
	s_or_b64 exec, exec, s[8:9]
	v_add_u32_e32 v8, s45, v0
	v_add_u32_e32 v11, s33, v9
	v_cmp_gt_i32_e64 s[6:7], s37, v11
	v_ashrrev_i32_e32 v9, 31, v8
	s_and_saveexec_b64 s[10:11], s[6:7]
	s_cbranch_execz .LBB19_13
; %bb.12:                               ;   in Loop: Header=BB19_3 Depth=1
	v_lshlrev_b64 v[12:13], 2, v[8:9]
	v_mov_b32_e32 v10, s39
	v_add_co_u32_e64 v12, s[8:9], s38, v12
	v_addc_co_u32_e64 v13, s[8:9], v10, v13, s[8:9]
	global_load_dword v36, v[12:13], off
.LBB19_13:                              ;   in Loop: Header=BB19_3 Depth=1
	;; [unrolled: 14-line block ×12, first 2 shown]
	s_or_b64 exec, exec, s[30:31]
	v_add_u32_e32 v30, s56, v0
	v_add_u32_e32 v31, s33, v31
	v_cmp_gt_i32_e64 s[28:29], s37, v31
	v_ashrrev_i32_e32 v31, 31, v30
	s_and_saveexec_b64 s[34:35], s[28:29]
	s_cbranch_execnz .LBB19_50
; %bb.34:                               ;   in Loop: Header=BB19_3 Depth=1
	s_or_b64 exec, exec, s[34:35]
	s_and_saveexec_b64 s[30:31], vcc
	s_cbranch_execnz .LBB19_51
.LBB19_35:                              ;   in Loop: Header=BB19_3 Depth=1
	s_or_b64 exec, exec, s[30:31]
	s_and_saveexec_b64 s[30:31], s[0:1]
	s_cbranch_execnz .LBB19_52
.LBB19_36:                              ;   in Loop: Header=BB19_3 Depth=1
	s_or_b64 exec, exec, s[30:31]
	s_and_saveexec_b64 s[0:1], s[2:3]
	s_cbranch_execnz .LBB19_53
.LBB19_37:                              ;   in Loop: Header=BB19_3 Depth=1
	s_or_b64 exec, exec, s[0:1]
	s_and_saveexec_b64 s[0:1], s[4:5]
	s_cbranch_execnz .LBB19_54
.LBB19_38:                              ;   in Loop: Header=BB19_3 Depth=1
	s_or_b64 exec, exec, s[0:1]
	s_and_saveexec_b64 s[0:1], s[6:7]
	s_cbranch_execnz .LBB19_55
.LBB19_39:                              ;   in Loop: Header=BB19_3 Depth=1
	s_or_b64 exec, exec, s[0:1]
	s_and_saveexec_b64 s[0:1], s[8:9]
	s_cbranch_execnz .LBB19_56
.LBB19_40:                              ;   in Loop: Header=BB19_3 Depth=1
	s_or_b64 exec, exec, s[0:1]
	s_and_saveexec_b64 s[0:1], s[10:11]
	s_cbranch_execnz .LBB19_57
.LBB19_41:                              ;   in Loop: Header=BB19_3 Depth=1
	s_or_b64 exec, exec, s[0:1]
	s_and_saveexec_b64 s[0:1], s[12:13]
	s_cbranch_execnz .LBB19_58
.LBB19_42:                              ;   in Loop: Header=BB19_3 Depth=1
	s_or_b64 exec, exec, s[0:1]
	s_and_saveexec_b64 s[0:1], s[14:15]
	s_cbranch_execnz .LBB19_59
.LBB19_43:                              ;   in Loop: Header=BB19_3 Depth=1
	s_or_b64 exec, exec, s[0:1]
	s_and_saveexec_b64 s[0:1], s[16:17]
	s_cbranch_execnz .LBB19_60
.LBB19_44:                              ;   in Loop: Header=BB19_3 Depth=1
	s_or_b64 exec, exec, s[0:1]
	s_and_saveexec_b64 s[0:1], s[18:19]
	s_cbranch_execnz .LBB19_61
.LBB19_45:                              ;   in Loop: Header=BB19_3 Depth=1
	s_or_b64 exec, exec, s[0:1]
	s_and_saveexec_b64 s[0:1], s[20:21]
	s_cbranch_execnz .LBB19_62
.LBB19_46:                              ;   in Loop: Header=BB19_3 Depth=1
	s_or_b64 exec, exec, s[0:1]
	s_and_saveexec_b64 s[0:1], s[22:23]
	s_cbranch_execnz .LBB19_63
.LBB19_47:                              ;   in Loop: Header=BB19_3 Depth=1
	s_or_b64 exec, exec, s[0:1]
	s_and_saveexec_b64 s[0:1], s[24:25]
	s_cbranch_execnz .LBB19_64
.LBB19_48:                              ;   in Loop: Header=BB19_3 Depth=1
	s_or_b64 exec, exec, s[0:1]
	s_and_saveexec_b64 s[0:1], s[26:27]
	s_cbranch_execnz .LBB19_65
.LBB19_49:                              ;   in Loop: Header=BB19_3 Depth=1
	s_or_b64 exec, exec, s[0:1]
	s_and_saveexec_b64 s[0:1], s[28:29]
	s_cbranch_execz .LBB19_2
	s_branch .LBB19_66
.LBB19_50:                              ;   in Loop: Header=BB19_3 Depth=1
	s_waitcnt vmcnt(0)
	v_lshlrev_b64 v[47:48], 2, v[30:31]
	v_mov_b32_e32 v49, s39
	v_add_co_u32_e64 v47, s[30:31], s38, v47
	v_addc_co_u32_e64 v48, s[30:31], v49, v48, s[30:31]
	global_load_dword v47, v[47:48], off
	s_or_b64 exec, exec, s[34:35]
	s_and_saveexec_b64 s[30:31], vcc
	s_cbranch_execz .LBB19_35
.LBB19_51:                              ;   in Loop: Header=BB19_3 Depth=1
	v_lshlrev_b64 v[48:49], 2, v[0:1]
	v_mov_b32_e32 v1, s41
	v_add_co_u32_e32 v48, vcc, s40, v48
	v_addc_co_u32_e32 v49, vcc, v1, v49, vcc
	s_waitcnt vmcnt(0)
	global_store_dword v[48:49], v32, off
	s_or_b64 exec, exec, s[30:31]
	s_and_saveexec_b64 s[30:31], s[0:1]
	s_cbranch_execz .LBB19_36
.LBB19_52:                              ;   in Loop: Header=BB19_3 Depth=1
	v_lshlrev_b64 v[1:2], 2, v[2:3]
	v_mov_b32_e32 v3, s41
	v_add_co_u32_e32 v1, vcc, s40, v1
	v_addc_co_u32_e32 v2, vcc, v3, v2, vcc
	s_waitcnt vmcnt(0)
	global_store_dword v[1:2], v33, off
	s_or_b64 exec, exec, s[30:31]
	s_and_saveexec_b64 s[0:1], s[2:3]
	s_cbranch_execz .LBB19_37
.LBB19_53:                              ;   in Loop: Header=BB19_3 Depth=1
	v_lshlrev_b64 v[1:2], 2, v[4:5]
	v_mov_b32_e32 v3, s41
	v_add_co_u32_e32 v1, vcc, s40, v1
	v_addc_co_u32_e32 v2, vcc, v3, v2, vcc
	s_waitcnt vmcnt(0)
	global_store_dword v[1:2], v34, off
	s_or_b64 exec, exec, s[0:1]
	s_and_saveexec_b64 s[0:1], s[4:5]
	s_cbranch_execz .LBB19_38
.LBB19_54:                              ;   in Loop: Header=BB19_3 Depth=1
	v_lshlrev_b64 v[1:2], 2, v[6:7]
	v_mov_b32_e32 v3, s41
	v_add_co_u32_e32 v1, vcc, s40, v1
	v_addc_co_u32_e32 v2, vcc, v3, v2, vcc
	s_waitcnt vmcnt(0)
	global_store_dword v[1:2], v35, off
	s_or_b64 exec, exec, s[0:1]
	s_and_saveexec_b64 s[0:1], s[6:7]
	s_cbranch_execz .LBB19_39
.LBB19_55:                              ;   in Loop: Header=BB19_3 Depth=1
	v_lshlrev_b64 v[1:2], 2, v[8:9]
	v_mov_b32_e32 v3, s41
	v_add_co_u32_e32 v1, vcc, s40, v1
	v_addc_co_u32_e32 v2, vcc, v3, v2, vcc
	s_waitcnt vmcnt(0)
	global_store_dword v[1:2], v36, off
	s_or_b64 exec, exec, s[0:1]
	s_and_saveexec_b64 s[0:1], s[8:9]
	s_cbranch_execz .LBB19_40
.LBB19_56:                              ;   in Loop: Header=BB19_3 Depth=1
	v_lshlrev_b64 v[1:2], 2, v[10:11]
	v_mov_b32_e32 v3, s41
	v_add_co_u32_e32 v1, vcc, s40, v1
	v_addc_co_u32_e32 v2, vcc, v3, v2, vcc
	s_waitcnt vmcnt(0)
	global_store_dword v[1:2], v37, off
	s_or_b64 exec, exec, s[0:1]
	s_and_saveexec_b64 s[0:1], s[10:11]
	s_cbranch_execz .LBB19_41
.LBB19_57:                              ;   in Loop: Header=BB19_3 Depth=1
	v_lshlrev_b64 v[1:2], 2, v[12:13]
	v_mov_b32_e32 v3, s41
	v_add_co_u32_e32 v1, vcc, s40, v1
	v_addc_co_u32_e32 v2, vcc, v3, v2, vcc
	s_waitcnt vmcnt(0)
	global_store_dword v[1:2], v38, off
	s_or_b64 exec, exec, s[0:1]
	s_and_saveexec_b64 s[0:1], s[12:13]
	s_cbranch_execz .LBB19_42
.LBB19_58:                              ;   in Loop: Header=BB19_3 Depth=1
	v_lshlrev_b64 v[1:2], 2, v[14:15]
	v_mov_b32_e32 v3, s41
	v_add_co_u32_e32 v1, vcc, s40, v1
	v_addc_co_u32_e32 v2, vcc, v3, v2, vcc
	s_waitcnt vmcnt(0)
	global_store_dword v[1:2], v39, off
	s_or_b64 exec, exec, s[0:1]
	s_and_saveexec_b64 s[0:1], s[14:15]
	s_cbranch_execz .LBB19_43
.LBB19_59:                              ;   in Loop: Header=BB19_3 Depth=1
	v_lshlrev_b64 v[1:2], 2, v[16:17]
	v_mov_b32_e32 v3, s41
	v_add_co_u32_e32 v1, vcc, s40, v1
	v_addc_co_u32_e32 v2, vcc, v3, v2, vcc
	s_waitcnt vmcnt(0)
	global_store_dword v[1:2], v40, off
	s_or_b64 exec, exec, s[0:1]
	s_and_saveexec_b64 s[0:1], s[16:17]
	s_cbranch_execz .LBB19_44
.LBB19_60:                              ;   in Loop: Header=BB19_3 Depth=1
	v_lshlrev_b64 v[1:2], 2, v[18:19]
	v_mov_b32_e32 v3, s41
	v_add_co_u32_e32 v1, vcc, s40, v1
	v_addc_co_u32_e32 v2, vcc, v3, v2, vcc
	s_waitcnt vmcnt(0)
	global_store_dword v[1:2], v41, off
	s_or_b64 exec, exec, s[0:1]
	s_and_saveexec_b64 s[0:1], s[18:19]
	s_cbranch_execz .LBB19_45
.LBB19_61:                              ;   in Loop: Header=BB19_3 Depth=1
	v_lshlrev_b64 v[1:2], 2, v[20:21]
	v_mov_b32_e32 v3, s41
	v_add_co_u32_e32 v1, vcc, s40, v1
	v_addc_co_u32_e32 v2, vcc, v3, v2, vcc
	s_waitcnt vmcnt(0)
	global_store_dword v[1:2], v42, off
	s_or_b64 exec, exec, s[0:1]
	s_and_saveexec_b64 s[0:1], s[20:21]
	s_cbranch_execz .LBB19_46
.LBB19_62:                              ;   in Loop: Header=BB19_3 Depth=1
	v_lshlrev_b64 v[1:2], 2, v[22:23]
	v_mov_b32_e32 v3, s41
	v_add_co_u32_e32 v1, vcc, s40, v1
	v_addc_co_u32_e32 v2, vcc, v3, v2, vcc
	s_waitcnt vmcnt(0)
	global_store_dword v[1:2], v43, off
	s_or_b64 exec, exec, s[0:1]
	s_and_saveexec_b64 s[0:1], s[22:23]
	s_cbranch_execz .LBB19_47
.LBB19_63:                              ;   in Loop: Header=BB19_3 Depth=1
	v_lshlrev_b64 v[1:2], 2, v[24:25]
	v_mov_b32_e32 v3, s41
	v_add_co_u32_e32 v1, vcc, s40, v1
	v_addc_co_u32_e32 v2, vcc, v3, v2, vcc
	s_waitcnt vmcnt(0)
	global_store_dword v[1:2], v44, off
	s_or_b64 exec, exec, s[0:1]
	s_and_saveexec_b64 s[0:1], s[24:25]
	s_cbranch_execz .LBB19_48
.LBB19_64:                              ;   in Loop: Header=BB19_3 Depth=1
	v_lshlrev_b64 v[1:2], 2, v[26:27]
	v_mov_b32_e32 v3, s41
	v_add_co_u32_e32 v1, vcc, s40, v1
	v_addc_co_u32_e32 v2, vcc, v3, v2, vcc
	s_waitcnt vmcnt(0)
	global_store_dword v[1:2], v45, off
	s_or_b64 exec, exec, s[0:1]
	s_and_saveexec_b64 s[0:1], s[26:27]
	s_cbranch_execz .LBB19_49
.LBB19_65:                              ;   in Loop: Header=BB19_3 Depth=1
	v_lshlrev_b64 v[1:2], 2, v[28:29]
	v_mov_b32_e32 v3, s41
	v_add_co_u32_e32 v1, vcc, s40, v1
	v_addc_co_u32_e32 v2, vcc, v3, v2, vcc
	s_waitcnt vmcnt(0)
	global_store_dword v[1:2], v46, off
	s_or_b64 exec, exec, s[0:1]
	s_and_saveexec_b64 s[0:1], s[28:29]
	s_cbranch_execz .LBB19_2
.LBB19_66:                              ;   in Loop: Header=BB19_3 Depth=1
	v_lshlrev_b64 v[1:2], 2, v[30:31]
	v_mov_b32_e32 v3, s41
	v_add_co_u32_e32 v1, vcc, s40, v1
	v_addc_co_u32_e32 v2, vcc, v3, v2, vcc
	s_waitcnt vmcnt(0)
	global_store_dword v[1:2], v47, off
	s_branch .LBB19_2
.LBB19_67:
	s_endpgm
	.section	.rodata,"a",@progbits
	.p2align	6, 0x0
	.amdhsa_kernel _ZN9rocsolver6v33100L11stedc_copyCIfPfS2_EEviT0_iilT1_iil
		.amdhsa_group_segment_fixed_size 0
		.amdhsa_private_segment_fixed_size 0
		.amdhsa_kernarg_size 312
		.amdhsa_user_sgpr_count 6
		.amdhsa_user_sgpr_private_segment_buffer 1
		.amdhsa_user_sgpr_dispatch_ptr 0
		.amdhsa_user_sgpr_queue_ptr 0
		.amdhsa_user_sgpr_kernarg_segment_ptr 1
		.amdhsa_user_sgpr_dispatch_id 0
		.amdhsa_user_sgpr_flat_scratch_init 0
		.amdhsa_user_sgpr_private_segment_size 0
		.amdhsa_uses_dynamic_stack 0
		.amdhsa_system_sgpr_private_segment_wavefront_offset 0
		.amdhsa_system_sgpr_workgroup_id_x 1
		.amdhsa_system_sgpr_workgroup_id_y 1
		.amdhsa_system_sgpr_workgroup_id_z 0
		.amdhsa_system_sgpr_workgroup_info 0
		.amdhsa_system_vgpr_workitem_id 0
		.amdhsa_next_free_vgpr 50
		.amdhsa_next_free_sgpr 57
		.amdhsa_reserve_vcc 1
		.amdhsa_reserve_flat_scratch 0
		.amdhsa_float_round_mode_32 0
		.amdhsa_float_round_mode_16_64 0
		.amdhsa_float_denorm_mode_32 3
		.amdhsa_float_denorm_mode_16_64 3
		.amdhsa_dx10_clamp 1
		.amdhsa_ieee_mode 1
		.amdhsa_fp16_overflow 0
		.amdhsa_exception_fp_ieee_invalid_op 0
		.amdhsa_exception_fp_denorm_src 0
		.amdhsa_exception_fp_ieee_div_zero 0
		.amdhsa_exception_fp_ieee_overflow 0
		.amdhsa_exception_fp_ieee_underflow 0
		.amdhsa_exception_fp_ieee_inexact 0
		.amdhsa_exception_int_div_zero 0
	.end_amdhsa_kernel
	.section	.text._ZN9rocsolver6v33100L11stedc_copyCIfPfS2_EEviT0_iilT1_iil,"axG",@progbits,_ZN9rocsolver6v33100L11stedc_copyCIfPfS2_EEviT0_iilT1_iil,comdat
.Lfunc_end19:
	.size	_ZN9rocsolver6v33100L11stedc_copyCIfPfS2_EEviT0_iilT1_iil, .Lfunc_end19-_ZN9rocsolver6v33100L11stedc_copyCIfPfS2_EEviT0_iilT1_iil
                                        ; -- End function
	.set _ZN9rocsolver6v33100L11stedc_copyCIfPfS2_EEviT0_iilT1_iil.num_vgpr, 50
	.set _ZN9rocsolver6v33100L11stedc_copyCIfPfS2_EEviT0_iilT1_iil.num_agpr, 0
	.set _ZN9rocsolver6v33100L11stedc_copyCIfPfS2_EEviT0_iilT1_iil.numbered_sgpr, 57
	.set _ZN9rocsolver6v33100L11stedc_copyCIfPfS2_EEviT0_iilT1_iil.num_named_barrier, 0
	.set _ZN9rocsolver6v33100L11stedc_copyCIfPfS2_EEviT0_iilT1_iil.private_seg_size, 0
	.set _ZN9rocsolver6v33100L11stedc_copyCIfPfS2_EEviT0_iilT1_iil.uses_vcc, 1
	.set _ZN9rocsolver6v33100L11stedc_copyCIfPfS2_EEviT0_iilT1_iil.uses_flat_scratch, 0
	.set _ZN9rocsolver6v33100L11stedc_copyCIfPfS2_EEviT0_iilT1_iil.has_dyn_sized_stack, 0
	.set _ZN9rocsolver6v33100L11stedc_copyCIfPfS2_EEviT0_iilT1_iil.has_recursion, 0
	.set _ZN9rocsolver6v33100L11stedc_copyCIfPfS2_EEviT0_iilT1_iil.has_indirect_call, 0
	.section	.AMDGPU.csdata,"",@progbits
; Kernel info:
; codeLenInByte = 2448
; TotalNumSgprs: 61
; NumVgprs: 50
; ScratchSize: 0
; MemoryBound: 0
; FloatMode: 240
; IeeeMode: 1
; LDSByteSize: 0 bytes/workgroup (compile time only)
; SGPRBlocks: 7
; VGPRBlocks: 12
; NumSGPRsForWavesPerEU: 61
; NumVGPRsForWavesPerEU: 50
; Occupancy: 4
; WaveLimiterHint : 0
; COMPUTE_PGM_RSRC2:SCRATCH_EN: 0
; COMPUTE_PGM_RSRC2:USER_SGPR: 6
; COMPUTE_PGM_RSRC2:TRAP_HANDLER: 0
; COMPUTE_PGM_RSRC2:TGID_X_EN: 1
; COMPUTE_PGM_RSRC2:TGID_Y_EN: 1
; COMPUTE_PGM_RSRC2:TGID_Z_EN: 0
; COMPUTE_PGM_RSRC2:TIDIG_COMP_CNT: 0
	.section	.text._ZN9rocsolver6v33100L16stedc_reshuffleCIfPfS2_EEviT0_iilT1_iilPi,"axG",@progbits,_ZN9rocsolver6v33100L16stedc_reshuffleCIfPfS2_EEviT0_iilT1_iilPi,comdat
	.globl	_ZN9rocsolver6v33100L16stedc_reshuffleCIfPfS2_EEviT0_iilT1_iilPi ; -- Begin function _ZN9rocsolver6v33100L16stedc_reshuffleCIfPfS2_EEviT0_iilT1_iilPi
	.p2align	8
	.type	_ZN9rocsolver6v33100L16stedc_reshuffleCIfPfS2_EEviT0_iilT1_iilPi,@function
_ZN9rocsolver6v33100L16stedc_reshuffleCIfPfS2_EEviT0_iilT1_iilPi: ; @_ZN9rocsolver6v33100L16stedc_reshuffleCIfPfS2_EEviT0_iilT1_iilPi
; %bb.0:
	s_load_dword s0, s[4:5], 0x4c
	s_load_dword s37, s[4:5], 0x0
	s_waitcnt lgkmcnt(0)
	s_and_b32 s33, s0, 0xffff
	s_lshl_b32 s36, s33, 4
	v_cvt_f32_u32_e32 v1, s36
	s_sub_i32 s2, 0, s36
	s_add_i32 s0, s37, -1
	s_ashr_i32 s1, s0, 31
	v_rcp_iflag_f32_e32 v1, v1
	s_abs_i32 s0, s0
	v_mul_f32_e32 v1, 0x4f7ffffe, v1
	v_cvt_u32_f32_e32 v1, v1
	v_readfirstlane_b32 s3, v1
	s_mul_i32 s2, s2, s3
	s_mul_hi_u32 s2, s3, s2
	s_add_i32 s3, s3, s2
	s_mul_hi_u32 s2, s0, s3
	s_mul_i32 s3, s2, s36
	s_sub_i32 s0, s0, s3
	s_add_i32 s8, s2, 1
	s_sub_i32 s3, s0, s36
	s_cmp_ge_u32 s0, s36
	s_cselect_b32 s2, s8, s2
	s_cselect_b32 s0, s3, s0
	s_add_i32 s3, s2, 1
	s_cmp_ge_u32 s0, s36
	s_cselect_b32 s0, s3, s2
	s_xor_b32 s0, s0, s1
	s_sub_i32 s16, s0, s1
	s_cmp_lt_i32 s16, 0
	s_cbranch_scc1 .LBB20_67
; %bb.1:
	s_load_dwordx8 s[8:15], s[4:5], 0x8
	s_load_dwordx2 s[18:19], s[4:5], 0x28
	s_load_dwordx4 s[0:3], s[4:5], 0x30
	s_mul_i32 s4, s7, s37
	s_mul_i32 s4, s4, 13
	s_ashr_i32 s5, s4, 31
	s_lshl_b64 s[4:5], s[4:5], 2
	s_waitcnt lgkmcnt(0)
	s_add_u32 s4, s2, s4
	s_mul_i32 s2, s37, 10
	s_addc_u32 s5, s3, s5
	s_ashr_i32 s3, s2, 31
	s_lshl_b64 s[2:3], s[2:3], 2
	s_add_u32 s4, s4, s2
	s_addc_u32 s5, s5, s3
	s_mov_b32 s17, s7
	s_ashr_i32 s7, s6, 31
	s_lshl_b64 s[2:3], s[6:7], 2
	s_add_u32 s2, s4, s2
	s_addc_u32 s3, s5, s3
	s_load_dword s7, s[2:3], 0x0
	s_ashr_i32 s3, s10, 31
	s_mov_b32 s2, s10
	s_ashr_i32 s10, s17, 31
	s_mul_hi_u32 s4, s12, s17
	s_mul_i32 s5, s12, s10
	s_add_i32 s4, s4, s5
	s_mul_i32 s5, s13, s17
	s_add_i32 s5, s4, s5
	s_mul_i32 s4, s12, s17
	s_lshl_b64 s[4:5], s[4:5], 2
	s_add_u32 s4, s8, s4
	s_addc_u32 s5, s9, s5
	s_lshl_b64 s[2:3], s[2:3], 2
	s_add_u32 s4, s4, s2
	s_mul_hi_u32 s8, s0, s17
	s_mul_i32 s9, s0, s10
	s_addc_u32 s5, s5, s3
	s_add_i32 s8, s8, s9
	s_mul_i32 s1, s1, s17
	s_add_i32 s1, s8, s1
	s_mul_i32 s0, s0, s17
	s_ashr_i32 s3, s18, 31
	s_lshl_b64 s[0:1], s[0:1], 2
	s_mov_b32 s2, s18
	s_add_u32 s8, s14, s0
	s_addc_u32 s9, s15, s1
	s_lshl_b64 s[0:1], s[2:3], 2
	s_add_u32 s2, s8, s0
	s_waitcnt lgkmcnt(0)
	s_mul_i32 s0, s7, s11
	s_addc_u32 s3, s9, s1
	s_ashr_i32 s1, s0, 31
	s_lshl_b64 s[0:1], s[0:1], 2
	s_add_u32 s38, s4, s0
	s_mul_i32 s0, s19, s6
	s_addc_u32 s39, s5, s1
	s_ashr_i32 s1, s0, 31
	s_lshl_b64 s[0:1], s[0:1], 2
	s_add_u32 s40, s2, s0
	v_mov_b32_e32 v32, 0
	s_addc_u32 s41, s3, s1
	s_add_i32 s42, s16, 1
	s_lshl_b32 s43, s33, 1
	s_mul_i32 s44, s33, 3
	s_lshl_b32 s45, s33, 2
	s_mul_i32 s46, s33, 5
	s_mul_i32 s47, s33, 6
	;; [unrolled: 1-line block ×3, first 2 shown]
	s_lshl_b32 s49, s33, 3
	s_mul_i32 s50, s33, 9
	s_mul_i32 s51, s33, 10
	;; [unrolled: 1-line block ×7, first 2 shown]
	v_mov_b32_e32 v33, v32
	v_mov_b32_e32 v34, v32
	;; [unrolled: 1-line block ×15, first 2 shown]
	s_branch .LBB20_3
.LBB20_2:                               ;   in Loop: Header=BB20_3 Depth=1
	s_or_b64 exec, exec, s[0:1]
	s_add_i32 s42, s42, -1
	s_cmp_eq_u32 s42, 0
	v_add_u32_e32 v0, s36, v0
	s_cbranch_scc1 .LBB20_67
.LBB20_3:                               ; =>This Inner Loop Header: Depth=1
	v_cmp_gt_i32_e32 vcc, s37, v0
	v_ashrrev_i32_e32 v1, 31, v0
	s_and_saveexec_b64 s[2:3], vcc
	s_cbranch_execz .LBB20_5
; %bb.4:                                ;   in Loop: Header=BB20_3 Depth=1
	v_lshlrev_b64 v[2:3], 2, v[0:1]
	v_mov_b32_e32 v4, s39
	v_add_co_u32_e64 v2, s[0:1], s38, v2
	v_addc_co_u32_e64 v3, s[0:1], v4, v3, s[0:1]
	global_load_dword v32, v[2:3], off
.LBB20_5:                               ;   in Loop: Header=BB20_3 Depth=1
	s_or_b64 exec, exec, s[2:3]
	v_add_u32_e32 v2, s33, v0
	v_cmp_gt_i32_e64 s[0:1], s37, v2
	v_ashrrev_i32_e32 v3, 31, v2
	s_and_saveexec_b64 s[4:5], s[0:1]
	s_cbranch_execz .LBB20_7
; %bb.6:                                ;   in Loop: Header=BB20_3 Depth=1
	v_lshlrev_b64 v[4:5], 2, v[2:3]
	v_mov_b32_e32 v6, s39
	v_add_co_u32_e64 v4, s[2:3], s38, v4
	v_addc_co_u32_e64 v5, s[2:3], v6, v5, s[2:3]
	global_load_dword v33, v[4:5], off
.LBB20_7:                               ;   in Loop: Header=BB20_3 Depth=1
	s_or_b64 exec, exec, s[4:5]
	v_add_u32_e32 v4, s43, v0
	v_add_u32_e32 v7, s33, v2
	v_cmp_gt_i32_e64 s[2:3], s37, v7
	v_ashrrev_i32_e32 v5, 31, v4
	s_and_saveexec_b64 s[6:7], s[2:3]
	s_cbranch_execz .LBB20_9
; %bb.8:                                ;   in Loop: Header=BB20_3 Depth=1
	v_lshlrev_b64 v[8:9], 2, v[4:5]
	v_mov_b32_e32 v6, s39
	v_add_co_u32_e64 v8, s[4:5], s38, v8
	v_addc_co_u32_e64 v9, s[4:5], v6, v9, s[4:5]
	global_load_dword v34, v[8:9], off
.LBB20_9:                               ;   in Loop: Header=BB20_3 Depth=1
	s_or_b64 exec, exec, s[6:7]
	v_add_u32_e32 v6, s44, v0
	v_add_u32_e32 v9, s33, v7
	v_cmp_gt_i32_e64 s[4:5], s37, v9
	v_ashrrev_i32_e32 v7, 31, v6
	s_and_saveexec_b64 s[8:9], s[4:5]
	s_cbranch_execz .LBB20_11
; %bb.10:                               ;   in Loop: Header=BB20_3 Depth=1
	v_lshlrev_b64 v[10:11], 2, v[6:7]
	v_mov_b32_e32 v8, s39
	v_add_co_u32_e64 v10, s[6:7], s38, v10
	v_addc_co_u32_e64 v11, s[6:7], v8, v11, s[6:7]
	global_load_dword v35, v[10:11], off
.LBB20_11:                              ;   in Loop: Header=BB20_3 Depth=1
	s_or_b64 exec, exec, s[8:9]
	v_add_u32_e32 v8, s45, v0
	v_add_u32_e32 v11, s33, v9
	v_cmp_gt_i32_e64 s[6:7], s37, v11
	v_ashrrev_i32_e32 v9, 31, v8
	s_and_saveexec_b64 s[10:11], s[6:7]
	s_cbranch_execz .LBB20_13
; %bb.12:                               ;   in Loop: Header=BB20_3 Depth=1
	v_lshlrev_b64 v[12:13], 2, v[8:9]
	v_mov_b32_e32 v10, s39
	v_add_co_u32_e64 v12, s[8:9], s38, v12
	v_addc_co_u32_e64 v13, s[8:9], v10, v13, s[8:9]
	global_load_dword v36, v[12:13], off
.LBB20_13:                              ;   in Loop: Header=BB20_3 Depth=1
	s_or_b64 exec, exec, s[10:11]
	v_add_u32_e32 v10, s46, v0
	v_add_u32_e32 v13, s33, v11
	v_cmp_gt_i32_e64 s[8:9], s37, v13
	v_ashrrev_i32_e32 v11, 31, v10
	s_and_saveexec_b64 s[12:13], s[8:9]
	s_cbranch_execz .LBB20_15
; %bb.14:                               ;   in Loop: Header=BB20_3 Depth=1
	v_lshlrev_b64 v[14:15], 2, v[10:11]
	v_mov_b32_e32 v12, s39
	v_add_co_u32_e64 v14, s[10:11], s38, v14
	v_addc_co_u32_e64 v15, s[10:11], v12, v15, s[10:11]
	global_load_dword v37, v[14:15], off
.LBB20_15:                              ;   in Loop: Header=BB20_3 Depth=1
	s_or_b64 exec, exec, s[12:13]
	v_add_u32_e32 v12, s47, v0
	v_add_u32_e32 v15, s33, v13
	v_cmp_gt_i32_e64 s[10:11], s37, v15
	v_ashrrev_i32_e32 v13, 31, v12
	s_and_saveexec_b64 s[14:15], s[10:11]
	s_cbranch_execz .LBB20_17
; %bb.16:                               ;   in Loop: Header=BB20_3 Depth=1
	v_lshlrev_b64 v[16:17], 2, v[12:13]
	v_mov_b32_e32 v14, s39
	v_add_co_u32_e64 v16, s[12:13], s38, v16
	v_addc_co_u32_e64 v17, s[12:13], v14, v17, s[12:13]
	global_load_dword v38, v[16:17], off
.LBB20_17:                              ;   in Loop: Header=BB20_3 Depth=1
	s_or_b64 exec, exec, s[14:15]
	v_add_u32_e32 v14, s48, v0
	v_add_u32_e32 v17, s33, v15
	v_cmp_gt_i32_e64 s[12:13], s37, v17
	v_ashrrev_i32_e32 v15, 31, v14
	s_and_saveexec_b64 s[16:17], s[12:13]
	s_cbranch_execz .LBB20_19
; %bb.18:                               ;   in Loop: Header=BB20_3 Depth=1
	v_lshlrev_b64 v[18:19], 2, v[14:15]
	v_mov_b32_e32 v16, s39
	v_add_co_u32_e64 v18, s[14:15], s38, v18
	v_addc_co_u32_e64 v19, s[14:15], v16, v19, s[14:15]
	global_load_dword v39, v[18:19], off
.LBB20_19:                              ;   in Loop: Header=BB20_3 Depth=1
	s_or_b64 exec, exec, s[16:17]
	v_add_u32_e32 v16, s49, v0
	v_add_u32_e32 v19, s33, v17
	v_cmp_gt_i32_e64 s[14:15], s37, v19
	v_ashrrev_i32_e32 v17, 31, v16
	s_and_saveexec_b64 s[18:19], s[14:15]
	s_cbranch_execz .LBB20_21
; %bb.20:                               ;   in Loop: Header=BB20_3 Depth=1
	v_lshlrev_b64 v[20:21], 2, v[16:17]
	v_mov_b32_e32 v18, s39
	v_add_co_u32_e64 v20, s[16:17], s38, v20
	v_addc_co_u32_e64 v21, s[16:17], v18, v21, s[16:17]
	global_load_dword v40, v[20:21], off
.LBB20_21:                              ;   in Loop: Header=BB20_3 Depth=1
	s_or_b64 exec, exec, s[18:19]
	v_add_u32_e32 v18, s50, v0
	v_add_u32_e32 v21, s33, v19
	v_cmp_gt_i32_e64 s[16:17], s37, v21
	v_ashrrev_i32_e32 v19, 31, v18
	s_and_saveexec_b64 s[20:21], s[16:17]
	s_cbranch_execz .LBB20_23
; %bb.22:                               ;   in Loop: Header=BB20_3 Depth=1
	v_lshlrev_b64 v[22:23], 2, v[18:19]
	v_mov_b32_e32 v20, s39
	v_add_co_u32_e64 v22, s[18:19], s38, v22
	v_addc_co_u32_e64 v23, s[18:19], v20, v23, s[18:19]
	global_load_dword v41, v[22:23], off
.LBB20_23:                              ;   in Loop: Header=BB20_3 Depth=1
	s_or_b64 exec, exec, s[20:21]
	v_add_u32_e32 v20, s51, v0
	v_add_u32_e32 v23, s33, v21
	v_cmp_gt_i32_e64 s[18:19], s37, v23
	v_ashrrev_i32_e32 v21, 31, v20
	s_and_saveexec_b64 s[22:23], s[18:19]
	s_cbranch_execz .LBB20_25
; %bb.24:                               ;   in Loop: Header=BB20_3 Depth=1
	v_lshlrev_b64 v[24:25], 2, v[20:21]
	v_mov_b32_e32 v22, s39
	v_add_co_u32_e64 v24, s[20:21], s38, v24
	v_addc_co_u32_e64 v25, s[20:21], v22, v25, s[20:21]
	global_load_dword v42, v[24:25], off
.LBB20_25:                              ;   in Loop: Header=BB20_3 Depth=1
	s_or_b64 exec, exec, s[22:23]
	v_add_u32_e32 v22, s52, v0
	v_add_u32_e32 v25, s33, v23
	v_cmp_gt_i32_e64 s[20:21], s37, v25
	v_ashrrev_i32_e32 v23, 31, v22
	s_and_saveexec_b64 s[24:25], s[20:21]
	s_cbranch_execz .LBB20_27
; %bb.26:                               ;   in Loop: Header=BB20_3 Depth=1
	v_lshlrev_b64 v[26:27], 2, v[22:23]
	v_mov_b32_e32 v24, s39
	v_add_co_u32_e64 v26, s[22:23], s38, v26
	v_addc_co_u32_e64 v27, s[22:23], v24, v27, s[22:23]
	global_load_dword v43, v[26:27], off
.LBB20_27:                              ;   in Loop: Header=BB20_3 Depth=1
	s_or_b64 exec, exec, s[24:25]
	v_add_u32_e32 v24, s53, v0
	v_add_u32_e32 v27, s33, v25
	v_cmp_gt_i32_e64 s[22:23], s37, v27
	v_ashrrev_i32_e32 v25, 31, v24
	s_and_saveexec_b64 s[26:27], s[22:23]
	s_cbranch_execz .LBB20_29
; %bb.28:                               ;   in Loop: Header=BB20_3 Depth=1
	v_lshlrev_b64 v[28:29], 2, v[24:25]
	v_mov_b32_e32 v26, s39
	v_add_co_u32_e64 v28, s[24:25], s38, v28
	v_addc_co_u32_e64 v29, s[24:25], v26, v29, s[24:25]
	global_load_dword v44, v[28:29], off
.LBB20_29:                              ;   in Loop: Header=BB20_3 Depth=1
	s_or_b64 exec, exec, s[26:27]
	v_add_u32_e32 v26, s54, v0
	v_add_u32_e32 v29, s33, v27
	v_cmp_gt_i32_e64 s[24:25], s37, v29
	v_ashrrev_i32_e32 v27, 31, v26
	s_and_saveexec_b64 s[28:29], s[24:25]
	s_cbranch_execz .LBB20_31
; %bb.30:                               ;   in Loop: Header=BB20_3 Depth=1
	v_lshlrev_b64 v[30:31], 2, v[26:27]
	v_mov_b32_e32 v28, s39
	v_add_co_u32_e64 v30, s[26:27], s38, v30
	v_addc_co_u32_e64 v31, s[26:27], v28, v31, s[26:27]
	global_load_dword v45, v[30:31], off
.LBB20_31:                              ;   in Loop: Header=BB20_3 Depth=1
	s_or_b64 exec, exec, s[28:29]
	v_add_u32_e32 v28, s55, v0
	v_add_u32_e32 v31, s33, v29
	v_cmp_gt_i32_e64 s[26:27], s37, v31
	v_ashrrev_i32_e32 v29, 31, v28
	s_and_saveexec_b64 s[30:31], s[26:27]
	s_cbranch_execz .LBB20_33
; %bb.32:                               ;   in Loop: Header=BB20_3 Depth=1
	v_lshlrev_b64 v[48:49], 2, v[28:29]
	v_mov_b32_e32 v30, s39
	v_add_co_u32_e64 v48, s[28:29], s38, v48
	v_addc_co_u32_e64 v49, s[28:29], v30, v49, s[28:29]
	global_load_dword v46, v[48:49], off
.LBB20_33:                              ;   in Loop: Header=BB20_3 Depth=1
	s_or_b64 exec, exec, s[30:31]
	v_add_u32_e32 v30, s56, v0
	v_add_u32_e32 v31, s33, v31
	v_cmp_gt_i32_e64 s[28:29], s37, v31
	v_ashrrev_i32_e32 v31, 31, v30
	s_and_saveexec_b64 s[34:35], s[28:29]
	s_cbranch_execnz .LBB20_50
; %bb.34:                               ;   in Loop: Header=BB20_3 Depth=1
	s_or_b64 exec, exec, s[34:35]
	s_and_saveexec_b64 s[30:31], vcc
	s_cbranch_execnz .LBB20_51
.LBB20_35:                              ;   in Loop: Header=BB20_3 Depth=1
	s_or_b64 exec, exec, s[30:31]
	s_and_saveexec_b64 s[30:31], s[0:1]
	s_cbranch_execnz .LBB20_52
.LBB20_36:                              ;   in Loop: Header=BB20_3 Depth=1
	s_or_b64 exec, exec, s[30:31]
	s_and_saveexec_b64 s[0:1], s[2:3]
	s_cbranch_execnz .LBB20_53
.LBB20_37:                              ;   in Loop: Header=BB20_3 Depth=1
	s_or_b64 exec, exec, s[0:1]
	s_and_saveexec_b64 s[0:1], s[4:5]
	s_cbranch_execnz .LBB20_54
.LBB20_38:                              ;   in Loop: Header=BB20_3 Depth=1
	s_or_b64 exec, exec, s[0:1]
	s_and_saveexec_b64 s[0:1], s[6:7]
	s_cbranch_execnz .LBB20_55
.LBB20_39:                              ;   in Loop: Header=BB20_3 Depth=1
	s_or_b64 exec, exec, s[0:1]
	s_and_saveexec_b64 s[0:1], s[8:9]
	s_cbranch_execnz .LBB20_56
.LBB20_40:                              ;   in Loop: Header=BB20_3 Depth=1
	s_or_b64 exec, exec, s[0:1]
	s_and_saveexec_b64 s[0:1], s[10:11]
	s_cbranch_execnz .LBB20_57
.LBB20_41:                              ;   in Loop: Header=BB20_3 Depth=1
	s_or_b64 exec, exec, s[0:1]
	s_and_saveexec_b64 s[0:1], s[12:13]
	s_cbranch_execnz .LBB20_58
.LBB20_42:                              ;   in Loop: Header=BB20_3 Depth=1
	s_or_b64 exec, exec, s[0:1]
	s_and_saveexec_b64 s[0:1], s[14:15]
	s_cbranch_execnz .LBB20_59
.LBB20_43:                              ;   in Loop: Header=BB20_3 Depth=1
	s_or_b64 exec, exec, s[0:1]
	s_and_saveexec_b64 s[0:1], s[16:17]
	s_cbranch_execnz .LBB20_60
.LBB20_44:                              ;   in Loop: Header=BB20_3 Depth=1
	s_or_b64 exec, exec, s[0:1]
	s_and_saveexec_b64 s[0:1], s[18:19]
	s_cbranch_execnz .LBB20_61
.LBB20_45:                              ;   in Loop: Header=BB20_3 Depth=1
	s_or_b64 exec, exec, s[0:1]
	s_and_saveexec_b64 s[0:1], s[20:21]
	s_cbranch_execnz .LBB20_62
.LBB20_46:                              ;   in Loop: Header=BB20_3 Depth=1
	s_or_b64 exec, exec, s[0:1]
	s_and_saveexec_b64 s[0:1], s[22:23]
	s_cbranch_execnz .LBB20_63
.LBB20_47:                              ;   in Loop: Header=BB20_3 Depth=1
	s_or_b64 exec, exec, s[0:1]
	s_and_saveexec_b64 s[0:1], s[24:25]
	s_cbranch_execnz .LBB20_64
.LBB20_48:                              ;   in Loop: Header=BB20_3 Depth=1
	s_or_b64 exec, exec, s[0:1]
	s_and_saveexec_b64 s[0:1], s[26:27]
	s_cbranch_execnz .LBB20_65
.LBB20_49:                              ;   in Loop: Header=BB20_3 Depth=1
	s_or_b64 exec, exec, s[0:1]
	s_and_saveexec_b64 s[0:1], s[28:29]
	s_cbranch_execz .LBB20_2
	s_branch .LBB20_66
.LBB20_50:                              ;   in Loop: Header=BB20_3 Depth=1
	s_waitcnt vmcnt(0)
	v_lshlrev_b64 v[47:48], 2, v[30:31]
	v_mov_b32_e32 v49, s39
	v_add_co_u32_e64 v47, s[30:31], s38, v47
	v_addc_co_u32_e64 v48, s[30:31], v49, v48, s[30:31]
	global_load_dword v47, v[47:48], off
	s_or_b64 exec, exec, s[34:35]
	s_and_saveexec_b64 s[30:31], vcc
	s_cbranch_execz .LBB20_35
.LBB20_51:                              ;   in Loop: Header=BB20_3 Depth=1
	v_lshlrev_b64 v[48:49], 2, v[0:1]
	v_mov_b32_e32 v1, s41
	v_add_co_u32_e32 v48, vcc, s40, v48
	v_addc_co_u32_e32 v49, vcc, v1, v49, vcc
	s_waitcnt vmcnt(0)
	global_store_dword v[48:49], v32, off
	s_or_b64 exec, exec, s[30:31]
	s_and_saveexec_b64 s[30:31], s[0:1]
	s_cbranch_execz .LBB20_36
.LBB20_52:                              ;   in Loop: Header=BB20_3 Depth=1
	v_lshlrev_b64 v[1:2], 2, v[2:3]
	v_mov_b32_e32 v3, s41
	v_add_co_u32_e32 v1, vcc, s40, v1
	v_addc_co_u32_e32 v2, vcc, v3, v2, vcc
	s_waitcnt vmcnt(0)
	global_store_dword v[1:2], v33, off
	s_or_b64 exec, exec, s[30:31]
	s_and_saveexec_b64 s[0:1], s[2:3]
	s_cbranch_execz .LBB20_37
.LBB20_53:                              ;   in Loop: Header=BB20_3 Depth=1
	v_lshlrev_b64 v[1:2], 2, v[4:5]
	v_mov_b32_e32 v3, s41
	v_add_co_u32_e32 v1, vcc, s40, v1
	v_addc_co_u32_e32 v2, vcc, v3, v2, vcc
	s_waitcnt vmcnt(0)
	global_store_dword v[1:2], v34, off
	s_or_b64 exec, exec, s[0:1]
	s_and_saveexec_b64 s[0:1], s[4:5]
	s_cbranch_execz .LBB20_38
.LBB20_54:                              ;   in Loop: Header=BB20_3 Depth=1
	v_lshlrev_b64 v[1:2], 2, v[6:7]
	v_mov_b32_e32 v3, s41
	v_add_co_u32_e32 v1, vcc, s40, v1
	v_addc_co_u32_e32 v2, vcc, v3, v2, vcc
	s_waitcnt vmcnt(0)
	global_store_dword v[1:2], v35, off
	s_or_b64 exec, exec, s[0:1]
	s_and_saveexec_b64 s[0:1], s[6:7]
	s_cbranch_execz .LBB20_39
.LBB20_55:                              ;   in Loop: Header=BB20_3 Depth=1
	v_lshlrev_b64 v[1:2], 2, v[8:9]
	v_mov_b32_e32 v3, s41
	v_add_co_u32_e32 v1, vcc, s40, v1
	v_addc_co_u32_e32 v2, vcc, v3, v2, vcc
	s_waitcnt vmcnt(0)
	global_store_dword v[1:2], v36, off
	s_or_b64 exec, exec, s[0:1]
	s_and_saveexec_b64 s[0:1], s[8:9]
	s_cbranch_execz .LBB20_40
.LBB20_56:                              ;   in Loop: Header=BB20_3 Depth=1
	v_lshlrev_b64 v[1:2], 2, v[10:11]
	v_mov_b32_e32 v3, s41
	v_add_co_u32_e32 v1, vcc, s40, v1
	v_addc_co_u32_e32 v2, vcc, v3, v2, vcc
	s_waitcnt vmcnt(0)
	global_store_dword v[1:2], v37, off
	s_or_b64 exec, exec, s[0:1]
	s_and_saveexec_b64 s[0:1], s[10:11]
	s_cbranch_execz .LBB20_41
.LBB20_57:                              ;   in Loop: Header=BB20_3 Depth=1
	v_lshlrev_b64 v[1:2], 2, v[12:13]
	v_mov_b32_e32 v3, s41
	v_add_co_u32_e32 v1, vcc, s40, v1
	v_addc_co_u32_e32 v2, vcc, v3, v2, vcc
	s_waitcnt vmcnt(0)
	global_store_dword v[1:2], v38, off
	s_or_b64 exec, exec, s[0:1]
	s_and_saveexec_b64 s[0:1], s[12:13]
	s_cbranch_execz .LBB20_42
.LBB20_58:                              ;   in Loop: Header=BB20_3 Depth=1
	v_lshlrev_b64 v[1:2], 2, v[14:15]
	v_mov_b32_e32 v3, s41
	v_add_co_u32_e32 v1, vcc, s40, v1
	v_addc_co_u32_e32 v2, vcc, v3, v2, vcc
	s_waitcnt vmcnt(0)
	global_store_dword v[1:2], v39, off
	s_or_b64 exec, exec, s[0:1]
	s_and_saveexec_b64 s[0:1], s[14:15]
	s_cbranch_execz .LBB20_43
.LBB20_59:                              ;   in Loop: Header=BB20_3 Depth=1
	v_lshlrev_b64 v[1:2], 2, v[16:17]
	v_mov_b32_e32 v3, s41
	v_add_co_u32_e32 v1, vcc, s40, v1
	v_addc_co_u32_e32 v2, vcc, v3, v2, vcc
	s_waitcnt vmcnt(0)
	global_store_dword v[1:2], v40, off
	s_or_b64 exec, exec, s[0:1]
	s_and_saveexec_b64 s[0:1], s[16:17]
	s_cbranch_execz .LBB20_44
.LBB20_60:                              ;   in Loop: Header=BB20_3 Depth=1
	v_lshlrev_b64 v[1:2], 2, v[18:19]
	v_mov_b32_e32 v3, s41
	v_add_co_u32_e32 v1, vcc, s40, v1
	v_addc_co_u32_e32 v2, vcc, v3, v2, vcc
	s_waitcnt vmcnt(0)
	global_store_dword v[1:2], v41, off
	s_or_b64 exec, exec, s[0:1]
	s_and_saveexec_b64 s[0:1], s[18:19]
	s_cbranch_execz .LBB20_45
.LBB20_61:                              ;   in Loop: Header=BB20_3 Depth=1
	v_lshlrev_b64 v[1:2], 2, v[20:21]
	v_mov_b32_e32 v3, s41
	v_add_co_u32_e32 v1, vcc, s40, v1
	v_addc_co_u32_e32 v2, vcc, v3, v2, vcc
	s_waitcnt vmcnt(0)
	global_store_dword v[1:2], v42, off
	s_or_b64 exec, exec, s[0:1]
	s_and_saveexec_b64 s[0:1], s[20:21]
	s_cbranch_execz .LBB20_46
.LBB20_62:                              ;   in Loop: Header=BB20_3 Depth=1
	v_lshlrev_b64 v[1:2], 2, v[22:23]
	v_mov_b32_e32 v3, s41
	v_add_co_u32_e32 v1, vcc, s40, v1
	v_addc_co_u32_e32 v2, vcc, v3, v2, vcc
	s_waitcnt vmcnt(0)
	global_store_dword v[1:2], v43, off
	s_or_b64 exec, exec, s[0:1]
	s_and_saveexec_b64 s[0:1], s[22:23]
	s_cbranch_execz .LBB20_47
.LBB20_63:                              ;   in Loop: Header=BB20_3 Depth=1
	v_lshlrev_b64 v[1:2], 2, v[24:25]
	v_mov_b32_e32 v3, s41
	v_add_co_u32_e32 v1, vcc, s40, v1
	v_addc_co_u32_e32 v2, vcc, v3, v2, vcc
	s_waitcnt vmcnt(0)
	global_store_dword v[1:2], v44, off
	s_or_b64 exec, exec, s[0:1]
	s_and_saveexec_b64 s[0:1], s[24:25]
	s_cbranch_execz .LBB20_48
.LBB20_64:                              ;   in Loop: Header=BB20_3 Depth=1
	v_lshlrev_b64 v[1:2], 2, v[26:27]
	v_mov_b32_e32 v3, s41
	v_add_co_u32_e32 v1, vcc, s40, v1
	v_addc_co_u32_e32 v2, vcc, v3, v2, vcc
	s_waitcnt vmcnt(0)
	global_store_dword v[1:2], v45, off
	s_or_b64 exec, exec, s[0:1]
	s_and_saveexec_b64 s[0:1], s[26:27]
	s_cbranch_execz .LBB20_49
.LBB20_65:                              ;   in Loop: Header=BB20_3 Depth=1
	v_lshlrev_b64 v[1:2], 2, v[28:29]
	v_mov_b32_e32 v3, s41
	v_add_co_u32_e32 v1, vcc, s40, v1
	v_addc_co_u32_e32 v2, vcc, v3, v2, vcc
	s_waitcnt vmcnt(0)
	global_store_dword v[1:2], v46, off
	s_or_b64 exec, exec, s[0:1]
	s_and_saveexec_b64 s[0:1], s[28:29]
	s_cbranch_execz .LBB20_2
.LBB20_66:                              ;   in Loop: Header=BB20_3 Depth=1
	v_lshlrev_b64 v[1:2], 2, v[30:31]
	v_mov_b32_e32 v3, s41
	v_add_co_u32_e32 v1, vcc, s40, v1
	v_addc_co_u32_e32 v2, vcc, v3, v2, vcc
	s_waitcnt vmcnt(0)
	global_store_dword v[1:2], v47, off
	s_branch .LBB20_2
.LBB20_67:
	s_endpgm
	.section	.rodata,"a",@progbits
	.p2align	6, 0x0
	.amdhsa_kernel _ZN9rocsolver6v33100L16stedc_reshuffleCIfPfS2_EEviT0_iilT1_iilPi
		.amdhsa_group_segment_fixed_size 0
		.amdhsa_private_segment_fixed_size 0
		.amdhsa_kernarg_size 320
		.amdhsa_user_sgpr_count 6
		.amdhsa_user_sgpr_private_segment_buffer 1
		.amdhsa_user_sgpr_dispatch_ptr 0
		.amdhsa_user_sgpr_queue_ptr 0
		.amdhsa_user_sgpr_kernarg_segment_ptr 1
		.amdhsa_user_sgpr_dispatch_id 0
		.amdhsa_user_sgpr_flat_scratch_init 0
		.amdhsa_user_sgpr_private_segment_size 0
		.amdhsa_uses_dynamic_stack 0
		.amdhsa_system_sgpr_private_segment_wavefront_offset 0
		.amdhsa_system_sgpr_workgroup_id_x 1
		.amdhsa_system_sgpr_workgroup_id_y 1
		.amdhsa_system_sgpr_workgroup_id_z 0
		.amdhsa_system_sgpr_workgroup_info 0
		.amdhsa_system_vgpr_workitem_id 0
		.amdhsa_next_free_vgpr 50
		.amdhsa_next_free_sgpr 57
		.amdhsa_reserve_vcc 1
		.amdhsa_reserve_flat_scratch 0
		.amdhsa_float_round_mode_32 0
		.amdhsa_float_round_mode_16_64 0
		.amdhsa_float_denorm_mode_32 3
		.amdhsa_float_denorm_mode_16_64 3
		.amdhsa_dx10_clamp 1
		.amdhsa_ieee_mode 1
		.amdhsa_fp16_overflow 0
		.amdhsa_exception_fp_ieee_invalid_op 0
		.amdhsa_exception_fp_denorm_src 0
		.amdhsa_exception_fp_ieee_div_zero 0
		.amdhsa_exception_fp_ieee_overflow 0
		.amdhsa_exception_fp_ieee_underflow 0
		.amdhsa_exception_fp_ieee_inexact 0
		.amdhsa_exception_int_div_zero 0
	.end_amdhsa_kernel
	.section	.text._ZN9rocsolver6v33100L16stedc_reshuffleCIfPfS2_EEviT0_iilT1_iilPi,"axG",@progbits,_ZN9rocsolver6v33100L16stedc_reshuffleCIfPfS2_EEviT0_iilT1_iilPi,comdat
.Lfunc_end20:
	.size	_ZN9rocsolver6v33100L16stedc_reshuffleCIfPfS2_EEviT0_iilT1_iilPi, .Lfunc_end20-_ZN9rocsolver6v33100L16stedc_reshuffleCIfPfS2_EEviT0_iilT1_iilPi
                                        ; -- End function
	.set _ZN9rocsolver6v33100L16stedc_reshuffleCIfPfS2_EEviT0_iilT1_iilPi.num_vgpr, 50
	.set _ZN9rocsolver6v33100L16stedc_reshuffleCIfPfS2_EEviT0_iilT1_iilPi.num_agpr, 0
	.set _ZN9rocsolver6v33100L16stedc_reshuffleCIfPfS2_EEviT0_iilT1_iilPi.numbered_sgpr, 57
	.set _ZN9rocsolver6v33100L16stedc_reshuffleCIfPfS2_EEviT0_iilT1_iilPi.num_named_barrier, 0
	.set _ZN9rocsolver6v33100L16stedc_reshuffleCIfPfS2_EEviT0_iilT1_iilPi.private_seg_size, 0
	.set _ZN9rocsolver6v33100L16stedc_reshuffleCIfPfS2_EEviT0_iilT1_iilPi.uses_vcc, 1
	.set _ZN9rocsolver6v33100L16stedc_reshuffleCIfPfS2_EEviT0_iilT1_iilPi.uses_flat_scratch, 0
	.set _ZN9rocsolver6v33100L16stedc_reshuffleCIfPfS2_EEviT0_iilT1_iilPi.has_dyn_sized_stack, 0
	.set _ZN9rocsolver6v33100L16stedc_reshuffleCIfPfS2_EEviT0_iilT1_iilPi.has_recursion, 0
	.set _ZN9rocsolver6v33100L16stedc_reshuffleCIfPfS2_EEviT0_iilT1_iilPi.has_indirect_call, 0
	.section	.AMDGPU.csdata,"",@progbits
; Kernel info:
; codeLenInByte = 2532
; TotalNumSgprs: 61
; NumVgprs: 50
; ScratchSize: 0
; MemoryBound: 0
; FloatMode: 240
; IeeeMode: 1
; LDSByteSize: 0 bytes/workgroup (compile time only)
; SGPRBlocks: 7
; VGPRBlocks: 12
; NumSGPRsForWavesPerEU: 61
; NumVGPRsForWavesPerEU: 50
; Occupancy: 4
; WaveLimiterHint : 1
; COMPUTE_PGM_RSRC2:SCRATCH_EN: 0
; COMPUTE_PGM_RSRC2:USER_SGPR: 6
; COMPUTE_PGM_RSRC2:TRAP_HANDLER: 0
; COMPUTE_PGM_RSRC2:TGID_X_EN: 1
; COMPUTE_PGM_RSRC2:TGID_Y_EN: 1
; COMPUTE_PGM_RSRC2:TGID_Z_EN: 0
; COMPUTE_PGM_RSRC2:TIDIG_COMP_CNT: 0
	.section	.text._ZN9rocsolver6v33100L30stedc_mergeValues_Solve_kernelIfEEviiPT_lS3_lS3_S3_PiS2_S2_S2_,"axG",@progbits,_ZN9rocsolver6v33100L30stedc_mergeValues_Solve_kernelIfEEviiPT_lS3_lS3_S3_PiS2_S2_S2_,comdat
	.globl	_ZN9rocsolver6v33100L30stedc_mergeValues_Solve_kernelIfEEviiPT_lS3_lS3_S3_PiS2_S2_S2_ ; -- Begin function _ZN9rocsolver6v33100L30stedc_mergeValues_Solve_kernelIfEEviiPT_lS3_lS3_S3_PiS2_S2_S2_
	.p2align	8
	.type	_ZN9rocsolver6v33100L30stedc_mergeValues_Solve_kernelIfEEviiPT_lS3_lS3_S3_PiS2_S2_S2_,@function
_ZN9rocsolver6v33100L30stedc_mergeValues_Solve_kernelIfEEviiPT_lS3_lS3_S3_PiS2_S2_S2_: ; @_ZN9rocsolver6v33100L30stedc_mergeValues_Solve_kernelIfEEviiPT_lS3_lS3_S3_PiS2_S2_S2_
; %bb.0:
	s_load_dword s1, s[4:5], 0x5c
	s_load_dword s0, s[4:5], 0x4
	s_waitcnt lgkmcnt(0)
	s_and_b32 s1, s1, 0xffff
	s_mul_i32 s6, s6, s1
	v_add_u32_e32 v2, s6, v0
	v_cmp_gt_i32_e32 vcc, s0, v2
	s_and_saveexec_b64 s[2:3], vcc
	s_cbranch_execz .LBB21_194
; %bb.1:
	s_load_dwordx2 s[8:9], s[4:5], 0x38
	s_mul_i32 s2, s0, s7
	s_mul_i32 s6, s2, 13
	s_ashr_i32 s7, s6, 31
	s_ashr_i32 s1, s0, 31
	s_lshl_b64 s[6:7], s[6:7], 2
	s_waitcnt lgkmcnt(0)
	s_add_u32 s3, s8, s6
	s_mul_i32 s6, s0, 6
	s_addc_u32 s8, s9, s7
	s_ashr_i32 s7, s6, 31
	s_lshl_b64 s[6:7], s[6:7], 2
	v_ashrrev_i32_e32 v3, 31, v2
	s_add_u32 s3, s3, s6
	v_lshlrev_b64 v[0:1], 2, v[2:3]
	s_addc_u32 s8, s8, s7
	s_lshl_b64 s[6:7], s[0:1], 2
	s_add_u32 s6, s3, s6
	v_mov_b32_e32 v4, s8
	v_add_co_u32_e32 v3, vcc, s3, v0
	s_addc_u32 s7, s8, s7
	v_addc_co_u32_e32 v4, vcc, v4, v1, vcc
	v_mov_b32_e32 v5, s7
	v_add_co_u32_e32 v7, vcc, s6, v0
	v_addc_co_u32_e32 v8, vcc, v5, v1, vcc
	global_load_dword v6, v[3:4], off
	global_load_dword v14, v[7:8], off
	s_waitcnt vmcnt(1)
	v_sub_u32_e32 v11, v2, v6
	s_waitcnt vmcnt(0)
	v_cmp_lt_i32_e32 vcc, v11, v14
	s_and_b64 exec, exec, vcc
	s_cbranch_execz .LBB21_194
; %bb.2:
	s_load_dwordx4 s[12:15], s[4:5], 0x28
	s_load_dword s35, s[4:5], 0x40
	s_mul_i32 s6, s2, 10
	s_ashr_i32 s7, s6, 31
	s_lshl_b64 s[20:21], s[6:7], 2
	s_waitcnt lgkmcnt(0)
	s_add_u32 s3, s12, s20
	s_addc_u32 s6, s13, s21
	s_lshl_b32 s4, s0, 3
	s_ashr_i32 s5, s4, 31
	s_lshl_b64 s[22:23], s[4:5], 2
	s_add_u32 s7, s3, s22
	s_addc_u32 s6, s6, s23
	s_mul_i32 s4, s0, 0xffffffe4
	s_mul_hi_i32 s3, s0, 0xffffffe4
	s_add_u32 s33, s7, s4
	s_addc_u32 s34, s6, s3
	s_lshl_b64 s[4:5], s[0:1], 5
	s_add_u32 s1, s33, s4
	s_mul_i32 s2, s2, s0
	s_addc_u32 s3, s34, s5
	s_lshl_b32 s2, s2, 1
	v_mul_lo_u32 v2, v2, s0
	v_mov_b32_e32 v4, s3
	s_ashr_i32 s3, s2, 31
	v_add_co_u32_e32 v3, vcc, s1, v0
	s_lshl_b64 s[24:25], s[2:3], 2
	v_addc_co_u32_e32 v4, vcc, v4, v1, vcc
	s_add_u32 s1, s14, s24
	s_mul_i32 s2, s0, s0
	s_mov_b32 s3, 0
	global_load_dword v26, v[3:4], off
	s_addc_u32 s4, s15, s25
	s_lshl_b64 s[26:27], s[2:3], 2
	v_ashrrev_i32_e32 v3, 31, v2
	s_add_u32 s0, s1, s26
	v_lshlrev_b64 v[20:21], 2, v[2:3]
	s_addc_u32 s1, s4, s27
	v_ashrrev_i32_e32 v12, 31, v11
	v_mov_b32_e32 v3, s1
	v_add_co_u32_e32 v2, vcc, s0, v20
	v_lshlrev_b64 v[12:13], 2, v[11:12]
	v_addc_co_u32_e32 v3, vcc, v3, v21, vcc
	v_add_co_u32_e32 v4, vcc, v2, v12
	v_addc_co_u32_e32 v5, vcc, v3, v13, vcc
	global_load_dword v27, v[4:5], off
	v_ashrrev_i32_e32 v7, 31, v6
	v_lshlrev_b64 v[18:19], 2, v[6:7]
	v_add_u32_e32 v8, -1, v14
	v_mov_b32_e32 v7, s6
	v_add_co_u32_e64 v6, s[0:1], s7, v18
	v_cmp_ne_u32_e32 vcc, v11, v8
	v_addc_co_u32_e64 v7, s[0:1], v7, v19, s[0:1]
                                        ; implicit-def: $vgpr35
	s_and_saveexec_b64 s[0:1], vcc
	s_xor_b64 s[16:17], exec, s[0:1]
	s_cbranch_execz .LBB21_122
; %bb.3:
	global_load_dword v31, v[4:5], off offset:4
	v_cmp_lt_i32_e32 vcc, 0, v11
	v_mov_b32_e32 v22, 0
	s_waitcnt vmcnt(0)
	v_add_f32_e32 v9, v27, v31
	v_mul_f32_e32 v23, 0.5, v9
	s_and_saveexec_b64 s[0:1], vcc
	s_cbranch_execz .LBB21_7
; %bb.4:
	v_mov_b32_e32 v10, v7
	v_mov_b32_e32 v15, v3
	;; [unrolled: 1-line block ×3, first 2 shown]
	s_mov_b64 s[2:3], 0
	v_mov_b32_e32 v9, v6
	v_mov_b32_e32 v14, v2
	;; [unrolled: 1-line block ×3, first 2 shown]
.LBB21_5:                               ; =>This Inner Loop Header: Depth=1
	global_load_dword v17, v[14:15], off
	global_load_dword v24, v[9:10], off
	v_add_u32_e32 v16, -1, v16
	s_waitcnt vmcnt(1)
	v_sub_f32_e32 v17, v17, v23
	s_waitcnt vmcnt(0)
	v_div_scale_f32 v25, s[4:5], v17, v17, v24
	v_div_scale_f32 v28, vcc, v24, v17, v24
	v_rcp_f32_e32 v29, v25
	v_fma_f32 v30, -v25, v29, 1.0
	v_fmac_f32_e32 v29, v30, v29
	v_mul_f32_e32 v30, v28, v29
	v_fma_f32 v32, -v25, v30, v28
	v_fmac_f32_e32 v30, v32, v29
	v_fma_f32 v25, -v25, v30, v28
	v_div_fmas_f32 v25, v25, v29, v30
	v_add_co_u32_e32 v14, vcc, 4, v14
	v_addc_co_u32_e32 v15, vcc, 0, v15, vcc
	v_add_co_u32_e32 v9, vcc, 4, v9
	v_addc_co_u32_e32 v10, vcc, 0, v10, vcc
	v_cmp_eq_u32_e32 vcc, 0, v16
	s_or_b64 s[2:3], vcc, s[2:3]
	v_div_fixup_f32 v17, v25, v17, v24
	v_fmac_f32_e32 v22, v24, v17
	s_andn2_b64 exec, exec, s[2:3]
	s_cbranch_execnz .LBB21_5
; %bb.6:
	s_or_b64 exec, exec, s[2:3]
.LBB21_7:
	s_or_b64 exec, exec, s[0:1]
	v_add_u32_e32 v10, 1, v11
	v_cmp_gt_i32_e32 vcc, v8, v10
	v_mov_b32_e32 v24, 0
	v_ashrrev_i32_e32 v9, 31, v8
	s_and_saveexec_b64 s[0:1], vcc
	s_cbranch_execz .LBB21_11
; %bb.8:
	v_mov_b32_e32 v14, s25
	v_add_co_u32_e32 v15, vcc, s24, v20
	v_lshlrev_b64 v[16:17], 2, v[8:9]
	v_addc_co_u32_e32 v14, vcc, v14, v21, vcc
	v_add_co_u32_e32 v15, vcc, v15, v16
	s_add_u32 s2, s14, s26
	v_addc_co_u32_e32 v24, vcc, v14, v17, vcc
	s_addc_u32 s3, s15, s27
	v_mov_b32_e32 v25, s3
	v_add_co_u32_e32 v14, vcc, s2, v15
	s_add_u32 s2, s22, s20
	v_addc_co_u32_e32 v15, vcc, v25, v24, vcc
	s_addc_u32 s3, s23, s21
	v_mov_b32_e32 v24, s3
	v_add_co_u32_e32 v25, vcc, s2, v18
	v_addc_co_u32_e32 v24, vcc, v24, v19, vcc
	v_add_co_u32_e32 v16, vcc, v25, v16
	v_addc_co_u32_e32 v17, vcc, v24, v17, vcc
	v_mov_b32_e32 v24, s13
	v_add_co_u32_e32 v16, vcc, s12, v16
	v_addc_co_u32_e32 v17, vcc, v24, v17, vcc
	v_mov_b32_e32 v24, 0
	s_mov_b64 s[2:3], 0
	v_mov_b32_e32 v25, v8
.LBB21_9:                               ; =>This Inner Loop Header: Depth=1
	global_load_dword v28, v[14:15], off
	global_load_dword v29, v[16:17], off
	v_add_u32_e32 v25, -1, v25
	s_waitcnt vmcnt(1)
	v_sub_f32_e32 v28, v28, v23
	s_waitcnt vmcnt(0)
	v_div_scale_f32 v30, s[4:5], v28, v28, v29
	v_div_scale_f32 v32, vcc, v29, v28, v29
	v_rcp_f32_e32 v33, v30
	v_fma_f32 v34, -v30, v33, 1.0
	v_fmac_f32_e32 v33, v34, v33
	v_mul_f32_e32 v34, v32, v33
	v_fma_f32 v35, -v30, v34, v32
	v_fmac_f32_e32 v34, v35, v33
	v_fma_f32 v30, -v30, v34, v32
	v_div_fmas_f32 v30, v30, v33, v34
	v_add_co_u32_e32 v14, vcc, -4, v14
	v_addc_co_u32_e32 v15, vcc, -1, v15, vcc
	v_add_co_u32_e32 v16, vcc, -4, v16
	v_addc_co_u32_e32 v17, vcc, -1, v17, vcc
	v_cmp_le_i32_e32 vcc, v25, v10
	s_or_b64 s[2:3], vcc, s[2:3]
	v_div_fixup_f32 v28, v30, v28, v29
	v_fmac_f32_e32 v24, v29, v28
	s_andn2_b64 exec, exec, s[2:3]
	s_cbranch_execnz .LBB21_9
; %bb.10:
	s_or_b64 exec, exec, s[2:3]
.LBB21_11:
	s_or_b64 exec, exec, s[0:1]
	v_add_co_u32_e32 v12, vcc, v6, v12
	v_addc_co_u32_e32 v13, vcc, v7, v13, vcc
	global_load_dwordx2 v[15:16], v[12:13], off
	v_and_b32_e32 v14, 0x7fffffff, v26
	v_div_scale_f32 v17, s[0:1], v14, v14, 1.0
	v_div_scale_f32 v14, vcc, 1.0, v14, 1.0
	v_sub_f32_e32 v28, v31, v27
                                        ; implicit-def: $vgpr35
	v_rcp_f32_e32 v30, v17
	v_fma_f32 v32, -v17, v30, 1.0
	v_fmac_f32_e32 v30, v32, v30
	v_mul_f32_e32 v32, v14, v30
	v_fma_f32 v33, -v17, v32, v14
	v_fmac_f32_e32 v32, v33, v30
	v_fma_f32 v14, -v17, v32, v14
	v_div_fmas_f32 v14, v14, v30, v32
                                        ; implicit-def: $vgpr32
	s_waitcnt vmcnt(0)
	v_mul_f32_e32 v15, v15, v15
	v_fma_f32 v23, v16, v16, -v15
	v_add_f32_e32 v23, v23, v23
	v_div_scale_f32 v25, s[0:1], v28, v28, v23
	v_div_scale_f32 v29, s[0:1], v23, v28, v23
	s_mov_b64 vcc, s[0:1]
	v_mul_f32_e32 v16, v16, v16
	v_rcp_f32_e32 v33, v25
	v_fma_f32 v17, -v25, v33, 1.0
	v_fmac_f32_e32 v33, v17, v33
	v_mul_f32_e32 v17, v29, v33
	v_fma_f32 v30, -v25, v17, v29
	v_fmac_f32_e32 v17, v30, v33
	v_fma_f32 v25, -v25, v17, v29
	v_div_fmas_f32 v17, v25, v33, v17
	v_div_fixup_f32 v29, v14, |v26|, 1.0
	v_add_f32_e32 v14, v29, v22
	v_add_f32_e32 v14, v14, v24
                                        ; implicit-def: $vgpr33
	v_div_fixup_f32 v17, v17, v28, v23
	v_add_f32_e32 v17, v14, v17
	v_cmp_lt_f32_e64 s[0:1], 0, v17
	v_cmp_nlt_f32_e64 s[2:3], 0, v17
	v_mul_f32_e32 v17, v28, v14
	s_and_saveexec_b64 s[4:5], s[2:3]
	s_xor_b64 s[6:7], exec, s[4:5]
	s_cbranch_execz .LBB21_17
; %bb.12:
	v_sub_f32_e32 v11, v17, v15
	v_mul_f32_e32 v15, v28, v16
	v_sub_f32_e32 v11, v11, v16
	v_mul_f32_e32 v16, 4.0, v15
	v_mul_f32_e32 v16, v14, v16
	v_fmac_f32_e32 v16, v11, v11
	s_mov_b32 s4, 0xf800000
	s_mov_b32 s5, 0x4f800000
	v_mul_f32_e64 v17, |v16|, s5
	v_cmp_lt_f32_e64 vcc, |v16|, s4
	v_cndmask_b32_e64 v16, |v16|, v17, vcc
	v_sqrt_f32_e32 v17, v16
                                        ; implicit-def: $vgpr33
	v_add_u32_e32 v22, -1, v17
	v_fma_f32 v23, -v22, v17, v16
	v_cmp_ge_f32_e64 s[4:5], 0, v23
	v_add_u32_e32 v23, 1, v17
	v_cndmask_b32_e64 v22, v17, v22, s[4:5]
	v_fma_f32 v17, -v23, v17, v16
	v_cmp_lt_f32_e64 s[4:5], 0, v17
	v_cndmask_b32_e64 v17, v22, v23, s[4:5]
	v_mul_f32_e32 v22, 0x37800000, v17
	v_cndmask_b32_e32 v17, v17, v22, vcc
	v_mov_b32_e32 v22, 0x260
	v_cmp_class_f32_e32 vcc, v16, v22
	v_cndmask_b32_e32 v16, v17, v16, vcc
	v_cmp_ngt_f32_e32 vcc, 0, v11
	s_and_saveexec_b64 s[4:5], vcc
	s_xor_b64 s[4:5], exec, s[4:5]
	s_cbranch_execz .LBB21_14
; %bb.13:
	v_add_f32_e32 v11, v11, v16
	v_add_f32_e32 v14, v14, v14
	v_div_scale_f32 v15, s[8:9], v14, v14, -v11
	v_div_scale_f32 v16, vcc, -v11, v14, -v11
	v_rcp_f32_e32 v17, v15
	v_fma_f32 v22, -v15, v17, 1.0
	v_fmac_f32_e32 v17, v22, v17
	v_mul_f32_e32 v22, v16, v17
	v_fma_f32 v23, -v15, v22, v16
	v_fmac_f32_e32 v22, v23, v17
	v_fma_f32 v15, -v15, v22, v16
	v_div_fmas_f32 v15, v15, v17, v22
                                        ; implicit-def: $vgpr16
	v_div_fixup_f32 v33, v15, v14, -v11
                                        ; implicit-def: $vgpr15
                                        ; implicit-def: $vgpr11
.LBB21_14:
	s_andn2_saveexec_b64 s[4:5], s[4:5]
	s_cbranch_execz .LBB21_16
; %bb.15:
	v_add_f32_e32 v14, v15, v15
	v_sub_f32_e32 v11, v11, v16
	v_div_scale_f32 v15, s[8:9], v11, v11, v14
	v_div_scale_f32 v16, vcc, v14, v11, v14
	v_rcp_f32_e32 v17, v15
	v_fma_f32 v22, -v15, v17, 1.0
	v_fmac_f32_e32 v17, v22, v17
	v_mul_f32_e32 v22, v16, v17
	v_fma_f32 v23, -v15, v22, v16
	v_fmac_f32_e32 v22, v23, v17
	v_fma_f32 v15, -v15, v22, v16
	v_div_fmas_f32 v15, v15, v17, v22
	v_div_fixup_f32 v33, v15, v11, v14
.LBB21_16:
	s_or_b64 exec, exec, s[4:5]
	v_mul_f32_e32 v32, -0.5, v28
	v_add_f32_e32 v35, v31, v33
                                        ; implicit-def: $vgpr17
                                        ; implicit-def: $vgpr15
                                        ; implicit-def: $vgpr16
                                        ; implicit-def: $vgpr14
                                        ; implicit-def: $vgpr11
.LBB21_17:
	s_or_saveexec_b64 s[6:7], s[6:7]
	v_mov_b32_e32 v34, 0
	v_mov_b32_e32 v30, v31
	s_xor_b64 exec, exec, s[6:7]
	s_cbranch_execz .LBB21_23
; %bb.18:
	v_add_f32_e32 v10, v17, v15
	v_mul_f32_e32 v15, v28, v15
	v_add_f32_e32 v10, v10, v16
	v_mul_f32_e32 v16, -4.0, v15
	v_mul_f32_e32 v16, v14, v16
	v_fmac_f32_e32 v16, v10, v10
	s_mov_b32 s4, 0xf800000
	s_mov_b32 s5, 0x4f800000
	v_mul_f32_e64 v17, |v16|, s5
	v_cmp_lt_f32_e64 vcc, |v16|, s4
	v_cndmask_b32_e64 v16, |v16|, v17, vcc
	v_sqrt_f32_e32 v17, v16
                                        ; implicit-def: $vgpr33
	v_add_u32_e32 v22, -1, v17
	v_fma_f32 v23, -v22, v17, v16
	v_cmp_ge_f32_e64 s[4:5], 0, v23
	v_add_u32_e32 v23, 1, v17
	v_cndmask_b32_e64 v22, v17, v22, s[4:5]
	v_fma_f32 v17, -v23, v17, v16
	v_cmp_lt_f32_e64 s[4:5], 0, v17
	v_cndmask_b32_e64 v17, v22, v23, s[4:5]
	v_mul_f32_e32 v22, 0x37800000, v17
	v_cndmask_b32_e32 v17, v17, v22, vcc
	v_mov_b32_e32 v22, 0x260
	v_cmp_class_f32_e32 vcc, v16, v22
	v_cndmask_b32_e32 v16, v17, v16, vcc
	v_cmp_nlt_f32_e32 vcc, 0, v10
	s_and_saveexec_b64 s[4:5], vcc
	s_xor_b64 s[4:5], exec, s[4:5]
	s_cbranch_execz .LBB21_20
; %bb.19:
	v_sub_f32_e32 v10, v10, v16
	v_add_f32_e32 v14, v14, v14
	v_div_scale_f32 v15, s[8:9], v14, v14, v10
	v_div_scale_f32 v16, vcc, v10, v14, v10
	v_rcp_f32_e32 v17, v15
	v_fma_f32 v22, -v15, v17, 1.0
	v_fmac_f32_e32 v17, v22, v17
	v_mul_f32_e32 v22, v16, v17
	v_fma_f32 v23, -v15, v22, v16
	v_fmac_f32_e32 v22, v23, v17
	v_fma_f32 v15, -v15, v22, v16
	v_div_fmas_f32 v15, v15, v17, v22
                                        ; implicit-def: $vgpr16
	v_div_fixup_f32 v33, v15, v14, v10
                                        ; implicit-def: $vgpr15
                                        ; implicit-def: $vgpr10
.LBB21_20:
	s_andn2_saveexec_b64 s[4:5], s[4:5]
	s_cbranch_execz .LBB21_22
; %bb.21:
	v_add_f32_e32 v14, v15, v15
	v_add_f32_e32 v10, v10, v16
	v_div_scale_f32 v15, s[8:9], v10, v10, v14
	v_div_scale_f32 v16, vcc, v14, v10, v14
	v_rcp_f32_e32 v17, v15
	v_fma_f32 v22, -v15, v17, 1.0
	v_fmac_f32_e32 v17, v22, v17
	v_mul_f32_e32 v22, v16, v17
	v_fma_f32 v23, -v15, v22, v16
	v_fmac_f32_e32 v22, v23, v17
	v_fma_f32 v15, -v15, v22, v16
	v_div_fmas_f32 v15, v15, v17, v22
	v_div_fixup_f32 v33, v15, v10, v14
.LBB21_22:
	s_or_b64 exec, exec, s[4:5]
	v_mul_f32_e32 v34, 0.5, v28
	v_add_f32_e32 v35, v27, v33
	v_mov_b32_e32 v32, 0
	v_mov_b32_e32 v10, v11
	;; [unrolled: 1-line block ×3, first 2 shown]
.LBB21_23:
	s_or_b64 exec, exec, s[6:7]
	v_cmp_lt_i32_e32 vcc, -1, v10
	s_and_saveexec_b64 s[4:5], vcc
	s_cbranch_execz .LBB21_26
; %bb.24:
	v_mov_b32_e32 v15, v3
	v_add_u32_e32 v11, 1, v10
	s_mov_b64 s[6:7], 0
	v_mov_b32_e32 v14, v2
.LBB21_25:                              ; =>This Inner Loop Header: Depth=1
	global_load_dword v16, v[14:15], off
	v_add_u32_e32 v11, -1, v11
	v_cmp_eq_u32_e32 vcc, 0, v11
	s_or_b64 s[6:7], vcc, s[6:7]
	s_waitcnt vmcnt(0)
	v_sub_f32_e32 v16, v16, v30
	global_store_dword v[14:15], v16, off
	v_add_co_u32_e32 v14, vcc, 4, v14
	v_addc_co_u32_e32 v15, vcc, 0, v15, vcc
	s_andn2_b64 exec, exec, s[6:7]
	s_cbranch_execnz .LBB21_25
.LBB21_26:
	s_or_b64 exec, exec, s[4:5]
	v_cmp_le_i32_e64 s[8:9], v8, v10
	v_cmp_gt_i32_e64 s[4:5], v8, v10
	s_and_saveexec_b64 s[6:7], s[4:5]
	s_cbranch_execz .LBB21_29
; %bb.27:
	v_mov_b32_e32 v11, s25
	v_add_co_u32_e32 v16, vcc, s24, v20
	v_lshlrev_b64 v[14:15], 2, v[8:9]
	v_addc_co_u32_e32 v11, vcc, v11, v21, vcc
	v_add_co_u32_e32 v14, vcc, v16, v14
	s_add_u32 s10, s14, s26
	v_addc_co_u32_e32 v11, vcc, v11, v15, vcc
	s_addc_u32 s11, s15, s27
	v_mov_b32_e32 v15, s11
	v_add_co_u32_e32 v14, vcc, s10, v14
	v_addc_co_u32_e32 v15, vcc, v15, v11, vcc
	s_mov_b64 s[10:11], 0
	v_mov_b32_e32 v11, v8
.LBB21_28:                              ; =>This Inner Loop Header: Depth=1
	global_load_dword v16, v[14:15], off
	v_add_u32_e32 v11, -1, v11
	v_cmp_le_i32_e32 vcc, v11, v10
	s_or_b64 s[10:11], vcc, s[10:11]
	s_waitcnt vmcnt(0)
	v_sub_f32_e32 v16, v16, v30
	global_store_dword v[14:15], v16, off
	v_add_co_u32_e32 v14, vcc, -4, v14
	v_addc_co_u32_e32 v15, vcc, -1, v15, vcc
	s_andn2_b64 exec, exec, s[10:11]
	s_cbranch_execnz .LBB21_28
.LBB21_29:
	s_or_b64 exec, exec, s[6:7]
	v_ashrrev_i32_e32 v11, 31, v10
	v_lshlrev_b64 v[16:17], 2, v[10:11]
	v_cmp_lt_i32_e64 s[6:7], 0, v10
	v_add_co_u32_e32 v14, vcc, v2, v16
	v_addc_co_u32_e32 v15, vcc, v3, v17, vcc
	global_load_dword v22, v[14:15], off
	v_mov_b32_e32 v11, 0
	v_mov_b32_e32 v38, 0
	;; [unrolled: 1-line block ×3, first 2 shown]
	s_waitcnt vmcnt(0)
	v_sub_f32_e32 v22, v22, v33
	global_store_dword v[14:15], v22, off
	s_and_saveexec_b64 s[10:11], s[6:7]
	s_cbranch_execz .LBB21_33
; %bb.30:
	v_mov_b32_e32 v23, v7
	v_mov_b32_e32 v25, v3
	;; [unrolled: 1-line block ×3, first 2 shown]
	s_mov_b64 s[18:19], 0
	v_mov_b32_e32 v22, v6
	v_mov_b32_e32 v24, v2
	;; [unrolled: 1-line block ×5, first 2 shown]
.LBB21_31:                              ; =>This Inner Loop Header: Depth=1
	global_load_dword v39, v[24:25], off
	v_add_u32_e32 v38, -1, v38
	s_waitcnt vmcnt(0)
	v_sub_f32_e32 v39, v39, v33
	global_store_dword v[24:25], v39, off
	global_load_dword v40, v[22:23], off
	s_waitcnt vmcnt(0)
	v_div_scale_f32 v41, s[28:29], v39, v39, v40
	v_div_scale_f32 v42, vcc, v40, v39, v40
	v_rcp_f32_e32 v43, v41
	v_fma_f32 v44, -v41, v43, 1.0
	v_fmac_f32_e32 v43, v44, v43
	v_mul_f32_e32 v44, v42, v43
	v_fma_f32 v45, -v41, v44, v42
	v_fmac_f32_e32 v44, v45, v43
	v_fma_f32 v41, -v41, v44, v42
	v_div_fmas_f32 v41, v41, v43, v44
	v_cmp_eq_u32_e32 vcc, 0, v38
	s_or_b64 s[18:19], vcc, s[18:19]
	v_add_co_u32_e32 v24, vcc, 4, v24
	v_addc_co_u32_e32 v25, vcc, 0, v25, vcc
	v_add_co_u32_e32 v22, vcc, 4, v22
	v_addc_co_u32_e32 v23, vcc, 0, v23, vcc
	v_div_fixup_f32 v39, v41, v39, v40
	v_fmac_f32_e32 v36, v40, v39
	v_fmac_f32_e32 v11, v39, v39
	v_add_f32_e32 v37, v37, v36
	s_andn2_b64 exec, exec, s[18:19]
	s_cbranch_execnz .LBB21_31
; %bb.32:
	s_or_b64 exec, exec, s[18:19]
	v_and_b32_e32 v38, 0x7fffffff, v37
.LBB21_33:
	s_or_b64 exec, exec, s[10:11]
	v_mov_b32_e32 v37, 0
	v_mov_b32_e32 v39, 0
	s_and_saveexec_b64 s[10:11], s[4:5]
	s_cbranch_execz .LBB21_37
; %bb.34:
	v_mov_b32_e32 v22, s25
	v_add_co_u32_e32 v23, vcc, s24, v20
	v_lshlrev_b64 v[24:25], 2, v[8:9]
	v_addc_co_u32_e32 v22, vcc, v22, v21, vcc
	v_add_co_u32_e32 v23, vcc, v23, v24
	s_add_u32 s18, s14, s26
	v_addc_co_u32_e32 v37, vcc, v22, v25, vcc
	s_addc_u32 s19, s15, s27
	v_mov_b32_e32 v39, s19
	v_add_co_u32_e32 v22, vcc, s18, v23
	s_add_u32 s18, s22, s20
	v_addc_co_u32_e32 v23, vcc, v39, v37, vcc
	s_addc_u32 s19, s23, s21
	v_mov_b32_e32 v37, s19
	v_add_co_u32_e32 v39, vcc, s18, v18
	v_addc_co_u32_e32 v37, vcc, v37, v19, vcc
	v_add_co_u32_e32 v24, vcc, v39, v24
	v_addc_co_u32_e32 v25, vcc, v37, v25, vcc
	v_mov_b32_e32 v37, s13
	v_add_co_u32_e32 v24, vcc, s12, v24
	v_addc_co_u32_e32 v25, vcc, v37, v25, vcc
	v_mov_b32_e32 v37, 0
	s_mov_b64 s[18:19], 0
	v_mov_b32_e32 v40, v8
	v_mov_b32_e32 v39, 0
.LBB21_35:                              ; =>This Inner Loop Header: Depth=1
	global_load_dword v41, v[22:23], off
	v_add_u32_e32 v40, -1, v40
	s_waitcnt vmcnt(0)
	v_sub_f32_e32 v41, v41, v33
	global_store_dword v[22:23], v41, off
	global_load_dword v42, v[24:25], off
	s_waitcnt vmcnt(0)
	v_div_scale_f32 v43, s[28:29], v41, v41, v42
	v_div_scale_f32 v44, vcc, v42, v41, v42
	v_rcp_f32_e32 v45, v43
	v_fma_f32 v46, -v43, v45, 1.0
	v_fmac_f32_e32 v45, v46, v45
	v_mul_f32_e32 v46, v44, v45
	v_fma_f32 v47, -v43, v46, v44
	v_fmac_f32_e32 v46, v47, v45
	v_fma_f32 v43, -v43, v46, v44
	v_div_fmas_f32 v43, v43, v45, v46
	v_cmp_le_i32_e32 vcc, v40, v10
	s_or_b64 s[18:19], vcc, s[18:19]
	v_add_co_u32_e32 v22, vcc, -4, v22
	v_addc_co_u32_e32 v23, vcc, -1, v23, vcc
	v_add_co_u32_e32 v24, vcc, -4, v24
	v_addc_co_u32_e32 v25, vcc, -1, v25, vcc
	v_div_fixup_f32 v41, v43, v41, v42
	v_fmac_f32_e32 v39, v42, v41
	v_fmac_f32_e32 v37, v41, v41
	v_add_f32_e32 v38, v38, v39
	s_andn2_b64 exec, exec, s[18:19]
	s_cbranch_execnz .LBB21_35
; %bb.36:
	s_or_b64 exec, exec, s[18:19]
.LBB21_37:
	s_or_b64 exec, exec, s[10:11]
	v_add_co_u32_e32 v16, vcc, v6, v16
	v_addc_co_u32_e32 v17, vcc, v7, v17, vcc
	global_load_dword v24, v[14:15], off
	global_load_dword v22, v[16:17], off
	v_add_f32_e32 v37, v11, v37
	v_add_f32_e32 v11, v29, v29
	s_waitcnt vmcnt(0)
	v_div_scale_f32 v23, s[10:11], v24, v24, v22
	v_div_scale_f32 v25, vcc, v22, v24, v22
	s_mov_b32 s10, 0x40400000
	v_rcp_f32_e32 v40, v23
	v_fma_f32 v41, -v23, v40, 1.0
	v_fmac_f32_e32 v40, v41, v40
	v_mul_f32_e32 v41, v25, v40
	v_fma_f32 v42, -v23, v41, v25
	v_fmac_f32_e32 v41, v42, v40
	v_fma_f32 v23, -v23, v41, v25
	v_div_fmas_f32 v23, v23, v40, v41
	v_add_f32_e32 v25, v29, v36
	v_sub_f32_e32 v40, v39, v36
	v_add_f32_e32 v36, v25, v39
	v_mov_b32_e32 v39, v11
	v_fmac_f32_e32 v39, 0x41000000, v40
	v_div_fixup_f32 v23, v23, v24, v22
	v_mul_f32_e32 v40, v22, v23
	v_fma_f32 v25, v23, v23, v37
	v_fmac_f32_e32 v36, v22, v23
	v_fma_f32 v22, |v40|, s10, v39
	v_fma_f32 v22, |v33|, v25, v22
	v_add_f32_e32 v22, v38, v22
	v_mul_f32_e32 v22, s35, v22
	v_cmp_nle_f32_e64 s[10:11], |v36|, v22
	s_and_saveexec_b64 s[18:19], s[10:11]
	s_cbranch_execz .LBB21_121
; %bb.38:
	global_load_dwordx2 v[22:23], v[4:5], off
                                        ; implicit-def: $vgpr39
	s_and_saveexec_b64 s[10:11], s[2:3]
	s_xor_b64 s[10:11], exec, s[10:11]
	s_cbranch_execz .LBB21_40
; %bb.39:
	global_load_dword v35, v[12:13], off offset:4
	s_waitcnt vmcnt(0)
	v_mul_f32_e32 v38, v28, v35
	v_mul_f32_e32 v35, v35, v38
	v_div_scale_f32 v38, s[28:29], v23, v23, v35
	v_div_scale_f32 v39, vcc, v35, v23, v35
	v_rcp_f32_e32 v40, v38
	v_fma_f32 v41, -v38, v40, 1.0
	v_fmac_f32_e32 v40, v41, v40
	v_mul_f32_e32 v41, v39, v40
	v_fma_f32 v42, -v38, v41, v39
	v_fmac_f32_e32 v41, v42, v40
	v_fma_f32 v38, -v38, v41, v39
	v_div_fmas_f32 v38, v38, v40, v41
	v_div_fixup_f32 v35, v38, v23, v35
	v_div_scale_f32 v38, s[28:29], v23, v23, v35
	v_div_scale_f32 v39, vcc, v35, v23, v35
	v_rcp_f32_e32 v40, v38
	v_fma_f32 v41, -v38, v40, 1.0
	v_fmac_f32_e32 v40, v41, v40
	v_mul_f32_e32 v41, v39, v40
	v_fma_f32 v42, -v38, v41, v39
	v_fmac_f32_e32 v41, v42, v40
	v_fma_f32 v38, -v38, v41, v39
	v_div_fmas_f32 v38, v38, v40, v41
	v_fma_f32 v39, -v25, v22, v36
	v_div_fixup_f32 v35, v38, v23, v35
	v_sub_f32_e32 v39, v39, v35
.LBB21_40:
	s_or_saveexec_b64 s[10:11], s[10:11]
	v_sub_f32_e32 v27, v27, v31
	s_xor_b64 exec, exec, s[10:11]
	s_cbranch_execz .LBB21_42
; %bb.41:
	global_load_dword v31, v[12:13], off
	s_waitcnt vmcnt(0)
	v_mul_f32_e32 v35, v27, v31
	v_mul_f32_e32 v31, v31, v35
	v_div_scale_f32 v35, s[28:29], v22, v22, v31
	v_div_scale_f32 v38, vcc, v31, v22, v31
	v_rcp_f32_e32 v39, v35
	v_fma_f32 v40, -v35, v39, 1.0
	v_fmac_f32_e32 v39, v40, v39
	v_mul_f32_e32 v40, v38, v39
	v_fma_f32 v41, -v35, v40, v38
	v_fmac_f32_e32 v40, v41, v39
	v_fma_f32 v35, -v35, v40, v38
	v_div_fmas_f32 v35, v35, v39, v40
	v_div_fixup_f32 v31, v35, v22, v31
	v_div_scale_f32 v35, s[28:29], v22, v22, v31
	v_div_scale_f32 v38, vcc, v31, v22, v31
	v_rcp_f32_e32 v39, v35
	v_fma_f32 v40, -v35, v39, 1.0
	v_fmac_f32_e32 v39, v40, v39
	v_mul_f32_e32 v40, v38, v39
	v_fma_f32 v41, -v35, v40, v38
	v_fmac_f32_e32 v40, v41, v39
	v_fma_f32 v35, -v35, v40, v38
	v_div_fmas_f32 v35, v35, v39, v40
	v_fma_f32 v38, -v25, v23, v36
	v_div_fixup_f32 v31, v35, v22, v31
	v_sub_f32_e32 v39, v38, v31
.LBB21_42:
	s_or_b64 exec, exec, s[10:11]
	s_waitcnt vmcnt(0)
	v_mul_f32_e32 v35, v22, v23
	v_add_f32_e32 v31, v22, v23
	v_mul_f32_e32 v38, v25, v35
	v_fma_f32 v38, v36, v31, -v38
	v_mul_f32_e32 v31, v36, v35
	v_cmp_neq_f32_e32 vcc, 0, v39
                                        ; implicit-def: $vgpr35
	s_and_saveexec_b64 s[10:11], vcc
	s_xor_b64 s[28:29], exec, s[10:11]
	s_cbranch_execz .LBB21_48
; %bb.43:
	v_mul_f32_e32 v22, -4.0, v31
	v_mul_f32_e32 v22, v22, v39
	v_fmac_f32_e32 v22, v38, v38
	s_mov_b32 s10, 0xf800000
	s_mov_b32 s11, 0x4f800000
	v_mul_f32_e64 v23, |v22|, s11
	v_cmp_lt_f32_e64 vcc, |v22|, s10
	v_cndmask_b32_e64 v22, |v22|, v23, vcc
	v_sqrt_f32_e32 v23, v22
	v_add_u32_e32 v35, -1, v23
	v_fma_f32 v37, -v35, v23, v22
	v_cmp_ge_f32_e64 s[10:11], 0, v37
	v_add_u32_e32 v37, 1, v23
	v_cndmask_b32_e64 v35, v23, v35, s[10:11]
	v_fma_f32 v23, -v37, v23, v22
	v_cmp_lt_f32_e64 s[10:11], 0, v23
	v_cndmask_b32_e64 v23, v35, v37, s[10:11]
	v_mul_f32_e32 v35, 0x37800000, v23
	v_cndmask_b32_e32 v23, v23, v35, vcc
	v_mov_b32_e32 v35, 0x260
	v_cmp_class_f32_e32 vcc, v22, v35
	v_cndmask_b32_e32 v22, v23, v22, vcc
	v_cmp_ge_f32_e32 vcc, 0, v38
                                        ; implicit-def: $vgpr35
	s_and_saveexec_b64 s[10:11], vcc
	s_xor_b64 s[10:11], exec, s[10:11]
	s_cbranch_execz .LBB21_45
; %bb.44:
	v_sub_f32_e32 v22, v38, v22
	v_add_f32_e32 v23, v39, v39
	v_div_scale_f32 v31, s[30:31], v23, v23, v22
	v_div_scale_f32 v35, vcc, v22, v23, v22
	v_rcp_f32_e32 v37, v31
	v_fma_f32 v38, -v31, v37, 1.0
	v_fmac_f32_e32 v37, v38, v37
	v_mul_f32_e32 v38, v35, v37
	v_fma_f32 v39, -v31, v38, v35
	v_fmac_f32_e32 v38, v39, v37
	v_fma_f32 v31, -v31, v38, v35
	v_div_fmas_f32 v31, v31, v37, v38
                                        ; implicit-def: $vgpr38
	v_div_fixup_f32 v35, v31, v23, v22
                                        ; implicit-def: $vgpr31
                                        ; implicit-def: $vgpr22
.LBB21_45:
	s_andn2_saveexec_b64 s[10:11], s[10:11]
	s_cbranch_execz .LBB21_47
; %bb.46:
	v_add_f32_e32 v23, v31, v31
	v_add_f32_e32 v22, v38, v22
	v_div_scale_f32 v31, s[30:31], v22, v22, v23
	v_div_scale_f32 v35, vcc, v23, v22, v23
	v_rcp_f32_e32 v37, v31
	v_fma_f32 v38, -v31, v37, 1.0
	v_fmac_f32_e32 v37, v38, v37
	v_mul_f32_e32 v38, v35, v37
	v_fma_f32 v39, -v31, v38, v35
	v_fmac_f32_e32 v38, v39, v37
	v_fma_f32 v31, -v31, v38, v35
	v_div_fmas_f32 v31, v31, v37, v38
	v_div_fixup_f32 v35, v31, v22, v23
.LBB21_47:
	s_or_b64 exec, exec, s[10:11]
                                        ; implicit-def: $vgpr38
                                        ; implicit-def: $vgpr31
                                        ; implicit-def: $vgpr22_vgpr23
                                        ; implicit-def: $vgpr37
.LBB21_48:
	s_andn2_saveexec_b64 s[10:11], s[28:29]
	s_cbranch_execz .LBB21_56
; %bb.49:
	v_cmp_eq_f32_e32 vcc, 0, v38
	s_and_saveexec_b64 s[28:29], vcc
	s_cbranch_execz .LBB21_55
; %bb.50:
                                        ; implicit-def: $vgpr38
	s_and_saveexec_b64 s[30:31], s[2:3]
	s_xor_b64 s[30:31], exec, s[30:31]
	s_cbranch_execz .LBB21_52
; %bb.51:
	global_load_dword v23, v[12:13], off offset:4
	v_mul_f32_e32 v22, v22, v22
	s_waitcnt vmcnt(0)
	v_mul_f32_e32 v38, v23, v23
	v_fmac_f32_e32 v38, v37, v22
                                        ; implicit-def: $vgpr22_vgpr23
                                        ; implicit-def: $vgpr37
.LBB21_52:
	s_andn2_saveexec_b64 s[30:31], s[30:31]
	s_cbranch_execz .LBB21_54
; %bb.53:
	global_load_dword v22, v[12:13], off
	s_waitcnt vmcnt(0)
	v_mul_f32_e32 v38, v22, v22
	v_mul_f32_e32 v22, v23, v23
	v_fmac_f32_e32 v38, v37, v22
.LBB21_54:
	s_or_b64 exec, exec, s[30:31]
.LBB21_55:
	s_or_b64 exec, exec, s[28:29]
	v_div_scale_f32 v22, s[28:29], v38, v38, v31
	v_div_scale_f32 v23, vcc, v31, v38, v31
	v_rcp_f32_e32 v35, v22
	v_fma_f32 v37, -v22, v35, 1.0
	v_fmac_f32_e32 v35, v37, v35
	v_mul_f32_e32 v37, v23, v35
	v_fma_f32 v39, -v22, v37, v23
	v_fmac_f32_e32 v37, v39, v35
	v_fma_f32 v22, -v22, v37, v23
	v_div_fmas_f32 v22, v22, v35, v37
	v_div_fixup_f32 v35, v22, v38, v31
.LBB21_56:
	s_or_b64 exec, exec, s[10:11]
	v_mul_f32_e32 v22, v36, v35
	v_cmp_le_f32_e32 vcc, 0, v22
	s_and_saveexec_b64 s[10:11], vcc
	s_cbranch_execz .LBB21_58
; %bb.57:
	v_div_scale_f32 v22, s[28:29], v25, v25, -v36
	v_div_scale_f32 v23, vcc, -v36, v25, -v36
	v_rcp_f32_e32 v31, v22
	v_fma_f32 v35, -v22, v31, 1.0
	v_fmac_f32_e32 v31, v35, v31
	v_mul_f32_e32 v35, v23, v31
	v_fma_f32 v37, -v22, v35, v23
	v_fmac_f32_e32 v35, v37, v31
	v_fma_f32 v22, -v22, v35, v23
	v_div_fmas_f32 v22, v22, v31, v35
	v_div_fixup_f32 v35, v22, v25, -v36
.LBB21_58:
	s_or_b64 exec, exec, s[10:11]
	v_cmp_lt_f32_e32 vcc, v32, v33
	v_cndmask_b32_e32 v22, v32, v33, vcc
	v_cmp_nge_f32_e32 vcc, 0, v36
	v_cndmask_b32_e32 v31, v22, v32, vcc
	v_cmp_lt_f32_e32 vcc, 0, v36
	v_cmp_lt_f32_e64 s[10:11], v33, v34
	s_and_b64 vcc, vcc, s[10:11]
	v_cndmask_b32_e32 v32, v34, v33, vcc
	v_add_f32_e32 v22, v33, v35
	v_cmp_gt_f32_e32 vcc, v22, v32
	v_cmp_lt_f32_e64 s[10:11], v22, v31
	s_or_b64 s[28:29], vcc, s[10:11]
	s_and_saveexec_b64 s[10:11], s[28:29]
	s_cbranch_execz .LBB21_64
; %bb.59:
	v_cmp_ngt_f32_e32 vcc, 0, v36
                                        ; implicit-def: $vgpr35
	s_and_saveexec_b64 s[28:29], vcc
	s_xor_b64 s[28:29], exec, s[28:29]
; %bb.60:
	v_sub_f32_e32 v22, v31, v33
	v_mul_f32_e32 v35, 0.5, v22
; %bb.61:
	s_andn2_saveexec_b64 s[28:29], s[28:29]
; %bb.62:
	v_sub_f32_e32 v22, v32, v33
	v_mul_f32_e32 v35, 0.5, v22
; %bb.63:
	s_or_b64 exec, exec, s[28:29]
.LBB21_64:
	s_or_b64 exec, exec, s[10:11]
	v_sub_f32_e32 v22, v24, v35
	v_mov_b32_e32 v34, 0
	v_mov_b32_e32 v41, 0
	;; [unrolled: 1-line block ×3, first 2 shown]
	global_store_dword v[14:15], v22, off
	s_and_saveexec_b64 s[10:11], s[6:7]
	s_cbranch_execz .LBB21_68
; %bb.65:
	v_mov_b32_e32 v23, v7
	v_mov_b32_e32 v25, v3
	;; [unrolled: 1-line block ×3, first 2 shown]
	s_mov_b64 s[28:29], 0
	v_mov_b32_e32 v22, v6
	v_mov_b32_e32 v24, v2
	v_mov_b32_e32 v38, v10
	v_mov_b32_e32 v37, 0
	v_mov_b32_e32 v40, 0
.LBB21_66:                              ; =>This Inner Loop Header: Depth=1
	global_load_dword v39, v[24:25], off
	v_add_u32_e32 v38, -1, v38
	s_waitcnt vmcnt(0)
	v_sub_f32_e32 v39, v39, v35
	global_store_dword v[24:25], v39, off
	global_load_dword v41, v[22:23], off
	s_waitcnt vmcnt(0)
	v_div_scale_f32 v42, s[30:31], v39, v39, v41
	v_div_scale_f32 v43, vcc, v41, v39, v41
	v_rcp_f32_e32 v44, v42
	v_fma_f32 v45, -v42, v44, 1.0
	v_fmac_f32_e32 v44, v45, v44
	v_mul_f32_e32 v45, v43, v44
	v_fma_f32 v46, -v42, v45, v43
	v_fmac_f32_e32 v45, v46, v44
	v_fma_f32 v42, -v42, v45, v43
	v_div_fmas_f32 v42, v42, v44, v45
	v_cmp_eq_u32_e32 vcc, 0, v38
	s_or_b64 s[28:29], vcc, s[28:29]
	v_add_co_u32_e32 v24, vcc, 4, v24
	v_addc_co_u32_e32 v25, vcc, 0, v25, vcc
	v_add_co_u32_e32 v22, vcc, 4, v22
	v_addc_co_u32_e32 v23, vcc, 0, v23, vcc
	v_div_fixup_f32 v39, v42, v39, v41
	v_fmac_f32_e32 v40, v41, v39
	v_fmac_f32_e32 v34, v39, v39
	v_add_f32_e32 v37, v37, v40
	s_andn2_b64 exec, exec, s[28:29]
	s_cbranch_execnz .LBB21_66
; %bb.67:
	s_or_b64 exec, exec, s[28:29]
	v_and_b32_e32 v41, 0x7fffffff, v37
.LBB21_68:
	s_or_b64 exec, exec, s[10:11]
                                        ; implicit-def: $vgpr22_vgpr23
                                        ; implicit-def: $vgpr24_vgpr25
	s_and_saveexec_b64 s[10:11], s[8:9]
	s_xor_b64 s[8:9], exec, s[10:11]
	s_cbranch_execz .LBB21_70
; %bb.69:
	v_mov_b32_e32 v22, s25
	v_add_co_u32_e32 v23, vcc, s24, v20
	v_addc_co_u32_e32 v22, vcc, v22, v21, vcc
	v_lshlrev_b64 v[20:21], 2, v[8:9]
	v_mov_b32_e32 v24, s27
	v_add_co_u32_e32 v9, vcc, v23, v20
	v_addc_co_u32_e32 v23, vcc, v22, v21, vcc
	v_add_co_u32_e32 v22, vcc, s26, v9
	s_add_u32 s10, s22, s20
	v_addc_co_u32_e32 v23, vcc, v23, v24, vcc
	s_addc_u32 s11, s23, s21
	v_mov_b32_e32 v9, s11
	v_add_co_u32_e32 v18, vcc, s10, v18
	v_addc_co_u32_e32 v9, vcc, v9, v19, vcc
	v_add_co_u32_e32 v24, vcc, v18, v20
	v_addc_co_u32_e32 v25, vcc, v9, v21, vcc
                                        ; implicit-def: $vgpr20_vgpr21
                                        ; implicit-def: $vgpr18_vgpr19
.LBB21_70:
	s_or_saveexec_b64 s[8:9], s[8:9]
	v_mov_b32_e32 v38, 0
	v_mov_b32_e32 v42, 0
	s_xor_b64 exec, exec, s[8:9]
	s_cbranch_execz .LBB21_74
; %bb.71:
	v_mov_b32_e32 v22, s25
	v_add_co_u32_e32 v20, vcc, s24, v20
	v_lshlrev_b64 v[24:25], 2, v[8:9]
	v_addc_co_u32_e32 v21, vcc, v22, v21, vcc
	v_add_co_u32_e32 v9, vcc, v20, v24
	v_addc_co_u32_e32 v20, vcc, v21, v25, vcc
	v_mov_b32_e32 v21, s27
	v_add_co_u32_e32 v22, vcc, s26, v9
	v_addc_co_u32_e32 v23, vcc, v20, v21, vcc
	v_mov_b32_e32 v9, s15
	v_add_co_u32_e32 v20, vcc, s14, v22
	s_add_u32 s10, s22, s20
	v_addc_co_u32_e32 v21, vcc, v9, v23, vcc
	s_addc_u32 s11, s23, s21
	v_mov_b32_e32 v9, s11
	v_add_co_u32_e32 v18, vcc, s10, v18
	v_addc_co_u32_e32 v9, vcc, v9, v19, vcc
	v_add_co_u32_e32 v24, vcc, v18, v24
	v_addc_co_u32_e32 v25, vcc, v9, v25, vcc
	v_mov_b32_e32 v9, s13
	v_add_co_u32_e32 v18, vcc, s12, v24
	v_addc_co_u32_e32 v19, vcc, v9, v25, vcc
	v_mov_b32_e32 v38, 0
	s_mov_b64 s[10:11], 0
	v_mov_b32_e32 v9, v8
	v_mov_b32_e32 v42, 0
.LBB21_72:                              ; =>This Inner Loop Header: Depth=1
	global_load_dword v37, v[20:21], off
	v_add_u32_e32 v9, -1, v9
	s_waitcnt vmcnt(0)
	v_sub_f32_e32 v37, v37, v35
	global_store_dword v[20:21], v37, off
	global_load_dword v39, v[18:19], off
	s_waitcnt vmcnt(0)
	v_div_scale_f32 v43, s[20:21], v37, v37, v39
	v_div_scale_f32 v44, vcc, v39, v37, v39
	v_rcp_f32_e32 v45, v43
	v_fma_f32 v46, -v43, v45, 1.0
	v_fmac_f32_e32 v45, v46, v45
	v_mul_f32_e32 v46, v44, v45
	v_fma_f32 v47, -v43, v46, v44
	v_fmac_f32_e32 v46, v47, v45
	v_fma_f32 v43, -v43, v46, v44
	v_div_fmas_f32 v43, v43, v45, v46
	v_cmp_le_i32_e32 vcc, v9, v10
	s_or_b64 s[10:11], vcc, s[10:11]
	v_add_co_u32_e32 v20, vcc, -4, v20
	v_addc_co_u32_e32 v21, vcc, -1, v21, vcc
	v_add_co_u32_e32 v18, vcc, -4, v18
	v_addc_co_u32_e32 v19, vcc, -1, v19, vcc
	v_div_fixup_f32 v37, v43, v37, v39
	v_fmac_f32_e32 v42, v39, v37
	v_fmac_f32_e32 v38, v37, v37
	v_add_f32_e32 v41, v41, v42
	s_andn2_b64 exec, exec, s[10:11]
	s_cbranch_execnz .LBB21_72
; %bb.73:
	s_or_b64 exec, exec, s[10:11]
.LBB21_74:
	s_or_b64 exec, exec, s[8:9]
	global_load_dword v43, v[16:17], off
	global_load_dword v37, v[14:15], off
	v_and_b32_e32 v18, 0x7fffffff, v36
	s_mov_b32 s28, 0x41200000
	v_div_scale_f32 v19, s[8:9], s28, s28, v18
	v_add_f32_e32 v9, v33, v35
	v_add_f32_e32 v21, v29, v40
	v_sub_f32_e32 v33, v42, v40
	v_mov_b32_e32 v40, v11
	v_add_f32_e32 v39, v34, v38
	s_mov_b32 s29, 0x40400000
	v_fmac_f32_e32 v40, 0x41000000, v33
	v_mov_b32_e32 v44, s15
	v_mov_b32_e32 v45, s13
	s_mov_b32 s30, 1
	s_mov_b64 s[10:11], 0
	s_mov_b32 s31, 0xf800000
	s_mov_b32 s36, 0x4f800000
	v_mov_b32_e32 v33, 0x260
	v_rcp_f32_e32 v46, v19
	v_fma_f32 v47, -v19, v46, 1.0
	v_fmac_f32_e32 v46, v47, v46
	s_waitcnt vmcnt(0)
	v_div_scale_f32 v20, s[8:9], v37, v37, v43
	v_div_scale_f32 v35, vcc, v43, v37, v43
	v_div_scale_f32 v18, s[8:9], v18, s28, v18
	v_rcp_f32_e32 v48, v20
	v_mul_f32_e32 v47, v18, v46
	v_fma_f32 v50, -v20, v48, 1.0
	v_fmac_f32_e32 v48, v50, v48
	v_mul_f32_e32 v50, v35, v48
	v_fma_f32 v51, -v20, v50, v35
	v_fmac_f32_e32 v50, v51, v48
	v_fma_f32 v20, -v20, v50, v35
	v_fma_f32 v49, -v19, v47, v18
	v_div_fmas_f32 v48, v20, v48, v50
	v_fmac_f32_e32 v47, v49, v46
	v_fma_f32 v18, -v19, v47, v18
	s_mov_b64 vcc, s[8:9]
	v_div_fmas_f32 v46, v18, v46, v47
	v_add_co_u32_e64 v20, s[8:9], s12, v24
	v_add_co_u32_e32 v18, vcc, s14, v22
	v_add_f32_e32 v35, v21, v42
	v_addc_co_u32_e32 v19, vcc, v44, v23, vcc
	v_addc_co_u32_e64 v21, vcc, v45, v25, s[8:9]
                                        ; implicit-def: $sgpr12_sgpr13
	v_div_fixup_f32 v24, v48, v37, v43
	v_mul_f32_e32 v22, v43, v24
	v_fmac_f32_e32 v39, v24, v24
	v_fmac_f32_e32 v35, v43, v24
	v_fma_f32 v22, |v22|, s29, v40
	v_div_fixup_f32 v23, v46, s28, |v36|
	v_cndmask_b32_e64 v25, v35, -v35, s[0:1]
	v_fma_f32 v22, |v9|, v39, v22
	v_cmp_gt_f32_e64 s[14:15], v25, v23
	v_add_f32_e32 v22, v41, v22
	s_branch .LBB21_77
.LBB21_75:                              ;   in Loop: Header=BB21_77 Depth=1
	s_or_b64 exec, exec, s[8:9]
	global_load_dword v22, v[16:17], off
	global_load_dword v37, v[14:15], off
	v_and_b32_e32 v23, 0x7fffffff, v35
	v_div_scale_f32 v24, s[8:9], s28, s28, v23
	v_add_f32_e32 v9, v9, v36
	v_sub_f32_e32 v36, v42, v40
	s_add_i32 s30, s30, 1
	v_rcp_f32_e32 v43, v24
	v_fma_f32 v44, -v24, v43, 1.0
	v_fmac_f32_e32 v43, v44, v43
	s_waitcnt vmcnt(0)
	v_div_scale_f32 v25, s[8:9], v37, v37, v22
	v_div_scale_f32 v39, vcc, v22, v37, v22
	v_div_scale_f32 v23, s[8:9], v23, s28, v23
	v_rcp_f32_e32 v45, v25
	v_mul_f32_e32 v44, v23, v43
	v_fma_f32 v47, -v25, v45, 1.0
	v_fmac_f32_e32 v45, v47, v45
	v_mul_f32_e32 v47, v39, v45
	v_fma_f32 v48, -v25, v47, v39
	v_fmac_f32_e32 v47, v48, v45
	v_fma_f32 v46, -v24, v44, v23
	v_fma_f32 v25, -v25, v47, v39
	v_div_fmas_f32 v25, v25, v45, v47
	v_fmac_f32_e32 v44, v46, v43
	v_fma_f32 v23, -v24, v44, v23
	s_mov_b64 vcc, s[8:9]
	v_div_fmas_f32 v23, v23, v43, v44
	v_add_f32_e32 v24, v29, v40
	v_mov_b32_e32 v40, v11
	v_add_f32_e32 v42, v24, v42
	v_fmac_f32_e32 v40, 0x41000000, v36
	v_add_f32_e32 v39, v34, v38
	v_div_fixup_f32 v24, v25, v37, v22
	v_mul_f32_e32 v25, v22, v24
	v_fmac_f32_e32 v42, v22, v24
	v_fmac_f32_e32 v39, v24, v24
	v_div_fixup_f32 v22, v23, s28, |v35|
	v_fma_f32 v23, |v25|, s29, v40
	v_mul_f32_e32 v25, v35, v42
	v_cmp_gt_f32_e64 s[8:9], |v42|, v22
	v_cmp_lt_f32_e32 vcc, 0, v25
	s_and_b64 s[8:9], vcc, s[8:9]
	s_xor_b64 s[8:9], s[14:15], s[8:9]
	s_cmp_eq_u32 s30, 50
	s_cselect_b64 s[22:23], -1, 0
	v_fma_f32 v22, |v9|, v39, v23
	s_andn2_b64 s[12:13], s[12:13], exec
	s_and_b64 s[22:23], s[22:23], exec
	v_add_f32_e32 v22, v41, v22
	s_or_b64 s[12:13], s[12:13], s[22:23]
	v_mov_b32_e32 v35, v42
                                        ; implicit-def: $sgpr14_sgpr15
.LBB21_76:                              ;   in Loop: Header=BB21_77 Depth=1
	s_or_b64 exec, exec, s[20:21]
	s_and_b64 s[20:21], exec, s[12:13]
	s_or_b64 s[10:11], s[20:21], s[10:11]
	s_andn2_b64 s[14:15], s[14:15], exec
	s_and_b64 s[8:9], s[8:9], exec
	s_or_b64 s[14:15], s[14:15], s[8:9]
	s_andn2_b64 exec, exec, s[10:11]
	s_cbranch_execz .LBB21_120
.LBB21_77:                              ; =>This Loop Header: Depth=1
                                        ;     Child Loop BB21_114 Depth 2
                                        ;     Child Loop BB21_118 Depth 2
	v_mul_f32_e32 v22, s35, v22
	v_cmp_nle_f32_e64 s[22:23], |v35|, v22
	s_or_b64 s[12:13], s[12:13], exec
                                        ; implicit-def: $sgpr8_sgpr9
                                        ; implicit-def: $vgpr22
	s_and_saveexec_b64 s[20:21], s[22:23]
	s_cbranch_execz .LBB21_76
; %bb.78:                               ;   in Loop: Header=BB21_77 Depth=1
	global_load_dwordx2 v[22:23], v[4:5], off
	s_xor_b64 s[22:23], s[14:15], -1
                                        ; implicit-def: $vgpr40
	s_and_saveexec_b64 s[8:9], s[22:23]
	s_xor_b64 s[8:9], exec, s[8:9]
	s_cbranch_execz .LBB21_80
; %bb.79:                               ;   in Loop: Header=BB21_77 Depth=1
	v_fma_f32 v25, v24, v24, v34
	v_fma_f32 v24, v24, v24, v38
	v_cndmask_b32_e64 v34, v34, v25, s[0:1]
	v_cndmask_b32_e64 v38, v24, v38, s[0:1]
	s_waitcnt vmcnt(0)
	v_fma_f32 v24, -v34, v22, v35
	v_fma_f32 v40, -v38, v23, v24
.LBB21_80:                              ;   in Loop: Header=BB21_77 Depth=1
	s_andn2_saveexec_b64 s[8:9], s[8:9]
	s_cbranch_execz .LBB21_86
; %bb.81:                               ;   in Loop: Header=BB21_77 Depth=1
                                        ; implicit-def: $vgpr40
	s_and_saveexec_b64 s[24:25], s[2:3]
	s_xor_b64 s[24:25], exec, s[24:25]
	s_cbranch_execz .LBB21_83
; %bb.82:                               ;   in Loop: Header=BB21_77 Depth=1
	global_load_dword v24, v[12:13], off offset:4
	s_waitcnt vmcnt(0)
	v_mul_f32_e32 v25, v28, v24
	v_mul_f32_e32 v24, v24, v25
	v_div_scale_f32 v25, s[26:27], v23, v23, v24
	v_div_scale_f32 v36, vcc, v24, v23, v24
	v_rcp_f32_e32 v40, v25
	v_fma_f32 v41, -v25, v40, 1.0
	v_fmac_f32_e32 v40, v41, v40
	v_mul_f32_e32 v41, v36, v40
	v_fma_f32 v42, -v25, v41, v36
	v_fmac_f32_e32 v41, v42, v40
	v_fma_f32 v25, -v25, v41, v36
	v_div_fmas_f32 v25, v25, v40, v41
	v_div_fixup_f32 v24, v25, v23, v24
	v_div_scale_f32 v25, s[26:27], v23, v23, v24
	v_div_scale_f32 v36, vcc, v24, v23, v24
	v_rcp_f32_e32 v40, v25
	v_fma_f32 v41, -v25, v40, 1.0
	v_fmac_f32_e32 v40, v41, v40
	v_mul_f32_e32 v41, v36, v40
	v_fma_f32 v42, -v25, v41, v36
	v_fmac_f32_e32 v41, v42, v40
	v_fma_f32 v25, -v25, v41, v36
	v_div_fmas_f32 v25, v25, v40, v41
	v_fma_f32 v36, -v39, v22, v35
	v_div_fixup_f32 v24, v25, v23, v24
	v_sub_f32_e32 v40, v36, v24
.LBB21_83:                              ;   in Loop: Header=BB21_77 Depth=1
	s_andn2_saveexec_b64 s[24:25], s[24:25]
	s_cbranch_execz .LBB21_85
; %bb.84:                               ;   in Loop: Header=BB21_77 Depth=1
	global_load_dword v24, v[12:13], off
	s_waitcnt vmcnt(0)
	v_mul_f32_e32 v25, v27, v24
	v_mul_f32_e32 v24, v24, v25
	v_div_scale_f32 v25, s[26:27], v22, v22, v24
	v_div_scale_f32 v36, vcc, v24, v22, v24
	v_rcp_f32_e32 v40, v25
	v_fma_f32 v41, -v25, v40, 1.0
	v_fmac_f32_e32 v40, v41, v40
	v_mul_f32_e32 v41, v36, v40
	v_fma_f32 v42, -v25, v41, v36
	v_fmac_f32_e32 v41, v42, v40
	v_fma_f32 v25, -v25, v41, v36
	v_div_fmas_f32 v25, v25, v40, v41
	v_div_fixup_f32 v24, v25, v22, v24
	v_div_scale_f32 v25, s[26:27], v22, v22, v24
	v_div_scale_f32 v36, vcc, v24, v22, v24
	v_rcp_f32_e32 v40, v25
	v_fma_f32 v41, -v25, v40, 1.0
	v_fmac_f32_e32 v40, v41, v40
	v_mul_f32_e32 v41, v36, v40
	v_fma_f32 v42, -v25, v41, v36
	v_fmac_f32_e32 v41, v42, v40
	v_fma_f32 v25, -v25, v41, v36
	v_div_fmas_f32 v25, v25, v40, v41
	v_fma_f32 v36, -v39, v23, v35
	v_div_fixup_f32 v24, v25, v22, v24
	v_sub_f32_e32 v40, v36, v24
.LBB21_85:                              ;   in Loop: Header=BB21_77 Depth=1
	s_or_b64 exec, exec, s[24:25]
.LBB21_86:                              ;   in Loop: Header=BB21_77 Depth=1
	s_or_b64 exec, exec, s[8:9]
	s_waitcnt vmcnt(0)
	v_mul_f32_e32 v36, v22, v23
	v_add_f32_e32 v24, v22, v23
	v_mul_f32_e32 v25, v39, v36
	v_fma_f32 v25, v35, v24, -v25
	v_mul_f32_e32 v24, v35, v36
	v_cmp_neq_f32_e32 vcc, 0, v40
                                        ; implicit-def: $vgpr36
	s_and_saveexec_b64 s[8:9], vcc
	s_xor_b64 s[24:25], exec, s[8:9]
	s_cbranch_execz .LBB21_92
; %bb.87:                               ;   in Loop: Header=BB21_77 Depth=1
	v_mul_f32_e32 v22, -4.0, v24
	v_mul_f32_e32 v22, v22, v40
	v_fmac_f32_e32 v22, v25, v25
	v_mul_f32_e64 v23, |v22|, s36
	v_cmp_lt_f32_e64 vcc, |v22|, s31
	v_cndmask_b32_e64 v22, |v22|, v23, vcc
	v_sqrt_f32_e32 v23, v22
	v_add_u32_e32 v34, -1, v23
	v_fma_f32 v38, -v34, v23, v22
	v_add_u32_e32 v36, 1, v23
	v_cmp_ge_f32_e64 s[8:9], 0, v38
	v_cndmask_b32_e64 v34, v23, v34, s[8:9]
	v_fma_f32 v23, -v36, v23, v22
	v_cmp_lt_f32_e64 s[8:9], 0, v23
	v_cndmask_b32_e64 v23, v34, v36, s[8:9]
	v_mul_f32_e32 v34, 0x37800000, v23
	v_cndmask_b32_e32 v23, v23, v34, vcc
	v_cmp_class_f32_e32 vcc, v22, v33
	v_cndmask_b32_e32 v22, v23, v22, vcc
	v_cmp_ge_f32_e32 vcc, 0, v25
                                        ; implicit-def: $vgpr36
	s_and_saveexec_b64 s[8:9], vcc
	s_xor_b64 s[8:9], exec, s[8:9]
	s_cbranch_execz .LBB21_89
; %bb.88:                               ;   in Loop: Header=BB21_77 Depth=1
	v_sub_f32_e32 v22, v25, v22
	v_add_f32_e32 v23, v40, v40
	v_div_scale_f32 v24, s[26:27], v23, v23, v22
	v_div_scale_f32 v25, vcc, v22, v23, v22
	v_rcp_f32_e32 v34, v24
	v_fma_f32 v36, -v24, v34, 1.0
	v_fmac_f32_e32 v34, v36, v34
	v_mul_f32_e32 v36, v25, v34
	v_fma_f32 v38, -v24, v36, v25
	v_fmac_f32_e32 v36, v38, v34
	v_fma_f32 v24, -v24, v36, v25
	v_div_fmas_f32 v24, v24, v34, v36
                                        ; implicit-def: $vgpr25
	v_div_fixup_f32 v36, v24, v23, v22
                                        ; implicit-def: $vgpr24
                                        ; implicit-def: $vgpr22
.LBB21_89:                              ;   in Loop: Header=BB21_77 Depth=1
	s_andn2_saveexec_b64 s[8:9], s[8:9]
	s_cbranch_execz .LBB21_91
; %bb.90:                               ;   in Loop: Header=BB21_77 Depth=1
	v_add_f32_e32 v23, v24, v24
	v_add_f32_e32 v22, v25, v22
	v_div_scale_f32 v24, s[26:27], v22, v22, v23
	v_div_scale_f32 v25, vcc, v23, v22, v23
	v_rcp_f32_e32 v34, v24
	v_fma_f32 v36, -v24, v34, 1.0
	v_fmac_f32_e32 v34, v36, v34
	v_mul_f32_e32 v36, v25, v34
	v_fma_f32 v38, -v24, v36, v25
	v_fmac_f32_e32 v36, v38, v34
	v_fma_f32 v24, -v24, v36, v25
	v_div_fmas_f32 v24, v24, v34, v36
	v_div_fixup_f32 v36, v24, v22, v23
.LBB21_91:                              ;   in Loop: Header=BB21_77 Depth=1
	s_or_b64 exec, exec, s[8:9]
                                        ; implicit-def: $vgpr25
                                        ; implicit-def: $vgpr24
                                        ; implicit-def: $vgpr22_vgpr23
                                        ; implicit-def: $vgpr38
                                        ; implicit-def: $vgpr34
.LBB21_92:                              ;   in Loop: Header=BB21_77 Depth=1
	s_andn2_saveexec_b64 s[8:9], s[24:25]
	s_cbranch_execz .LBB21_104
; %bb.93:                               ;   in Loop: Header=BB21_77 Depth=1
	v_cmp_eq_f32_e32 vcc, 0, v25
	s_and_saveexec_b64 s[24:25], vcc
	s_cbranch_execz .LBB21_103
; %bb.94:                               ;   in Loop: Header=BB21_77 Depth=1
                                        ; implicit-def: $vgpr25
	s_and_saveexec_b64 s[26:27], s[22:23]
	s_xor_b64 s[22:23], exec, s[26:27]
; %bb.95:                               ;   in Loop: Header=BB21_77 Depth=1
	v_mul_f32_e32 v23, v23, v23
	v_mul_f32_e32 v22, v22, v22
	;; [unrolled: 1-line block ×3, first 2 shown]
	v_fmac_f32_e32 v25, v22, v34
                                        ; implicit-def: $vgpr22_vgpr23
                                        ; implicit-def: $vgpr34
                                        ; implicit-def: $vgpr38
; %bb.96:                               ;   in Loop: Header=BB21_77 Depth=1
	s_andn2_saveexec_b64 s[22:23], s[22:23]
	s_cbranch_execz .LBB21_102
; %bb.97:                               ;   in Loop: Header=BB21_77 Depth=1
	v_add_f32_e32 v34, v34, v38
                                        ; implicit-def: $vgpr25
	s_and_saveexec_b64 s[26:27], s[2:3]
	s_xor_b64 s[26:27], exec, s[26:27]
	s_cbranch_execz .LBB21_99
; %bb.98:                               ;   in Loop: Header=BB21_77 Depth=1
	global_load_dword v23, v[12:13], off offset:4
	v_mul_f32_e32 v22, v22, v22
	s_waitcnt vmcnt(0)
	v_mul_f32_e32 v25, v23, v23
	v_fmac_f32_e32 v25, v22, v34
                                        ; implicit-def: $vgpr22_vgpr23
                                        ; implicit-def: $vgpr34
.LBB21_99:                              ;   in Loop: Header=BB21_77 Depth=1
	s_andn2_saveexec_b64 s[26:27], s[26:27]
	s_cbranch_execz .LBB21_101
; %bb.100:                              ;   in Loop: Header=BB21_77 Depth=1
	global_load_dword v22, v[12:13], off
	s_waitcnt vmcnt(0)
	v_mul_f32_e32 v25, v22, v22
	v_mul_f32_e32 v22, v23, v23
	v_fmac_f32_e32 v25, v22, v34
.LBB21_101:                             ;   in Loop: Header=BB21_77 Depth=1
	s_or_b64 exec, exec, s[26:27]
.LBB21_102:                             ;   in Loop: Header=BB21_77 Depth=1
	s_or_b64 exec, exec, s[22:23]
.LBB21_103:                             ;   in Loop: Header=BB21_77 Depth=1
	s_or_b64 exec, exec, s[24:25]
	v_div_scale_f32 v22, s[22:23], v25, v25, v24
	v_div_scale_f32 v23, vcc, v24, v25, v24
	v_rcp_f32_e32 v34, v22
	v_fma_f32 v36, -v22, v34, 1.0
	v_fmac_f32_e32 v34, v36, v34
	v_mul_f32_e32 v36, v23, v34
	v_fma_f32 v38, -v22, v36, v23
	v_fmac_f32_e32 v36, v38, v34
	v_fma_f32 v22, -v22, v36, v23
	v_div_fmas_f32 v22, v22, v34, v36
	v_div_fixup_f32 v36, v22, v25, v24
.LBB21_104:                             ;   in Loop: Header=BB21_77 Depth=1
	s_or_b64 exec, exec, s[8:9]
	v_mul_f32_e32 v22, v35, v36
	v_cmp_le_f32_e32 vcc, 0, v22
	s_and_saveexec_b64 s[8:9], vcc
	s_cbranch_execz .LBB21_106
; %bb.105:                              ;   in Loop: Header=BB21_77 Depth=1
	v_div_scale_f32 v22, s[22:23], v39, v39, -v35
	v_div_scale_f32 v23, vcc, -v35, v39, -v35
	v_rcp_f32_e32 v24, v22
	v_fma_f32 v25, -v22, v24, 1.0
	v_fmac_f32_e32 v24, v25, v24
	v_mul_f32_e32 v25, v23, v24
	v_fma_f32 v34, -v22, v25, v23
	v_fmac_f32_e32 v25, v34, v24
	v_fma_f32 v22, -v22, v25, v23
	v_div_fmas_f32 v22, v22, v24, v25
	v_div_fixup_f32 v36, v22, v39, -v35
.LBB21_106:                             ;   in Loop: Header=BB21_77 Depth=1
	s_or_b64 exec, exec, s[8:9]
	v_cmp_lt_f32_e32 vcc, v31, v9
	v_cndmask_b32_e32 v22, v31, v9, vcc
	v_cmp_nge_f32_e32 vcc, 0, v35
	v_cndmask_b32_e32 v31, v22, v31, vcc
	v_cmp_lt_f32_e32 vcc, 0, v35
	v_cmp_lt_f32_e64 s[8:9], v9, v32
	s_and_b64 vcc, vcc, s[8:9]
	v_cndmask_b32_e32 v32, v32, v9, vcc
	v_add_f32_e32 v22, v9, v36
	v_cmp_gt_f32_e32 vcc, v22, v32
	v_cmp_lt_f32_e64 s[8:9], v22, v31
	s_or_b64 s[22:23], vcc, s[8:9]
	s_and_saveexec_b64 s[8:9], s[22:23]
	s_cbranch_execz .LBB21_112
; %bb.107:                              ;   in Loop: Header=BB21_77 Depth=1
	v_cmp_ngt_f32_e32 vcc, 0, v35
                                        ; implicit-def: $vgpr36
	s_and_saveexec_b64 s[22:23], vcc
	s_xor_b64 s[22:23], exec, s[22:23]
; %bb.108:                              ;   in Loop: Header=BB21_77 Depth=1
	v_sub_f32_e32 v22, v31, v9
	v_mul_f32_e32 v36, 0.5, v22
; %bb.109:                              ;   in Loop: Header=BB21_77 Depth=1
	s_andn2_saveexec_b64 s[22:23], s[22:23]
; %bb.110:                              ;   in Loop: Header=BB21_77 Depth=1
	v_sub_f32_e32 v22, v32, v9
	v_mul_f32_e32 v36, 0.5, v22
; %bb.111:                              ;   in Loop: Header=BB21_77 Depth=1
	s_or_b64 exec, exec, s[22:23]
.LBB21_112:                             ;   in Loop: Header=BB21_77 Depth=1
	s_or_b64 exec, exec, s[8:9]
	v_sub_f32_e32 v22, v37, v36
	v_mov_b32_e32 v34, 0
	v_mov_b32_e32 v41, 0
	;; [unrolled: 1-line block ×3, first 2 shown]
	global_store_dword v[14:15], v22, off
	s_and_saveexec_b64 s[8:9], s[6:7]
	s_cbranch_execz .LBB21_116
; %bb.113:                              ;   in Loop: Header=BB21_77 Depth=1
	v_mov_b32_e32 v23, v7
	v_mov_b32_e32 v25, v3
	;; [unrolled: 1-line block ×3, first 2 shown]
	s_mov_b64 s[22:23], 0
	v_mov_b32_e32 v22, v6
	v_mov_b32_e32 v24, v2
	;; [unrolled: 1-line block ×5, first 2 shown]
.LBB21_114:                             ;   Parent Loop BB21_77 Depth=1
                                        ; =>  This Inner Loop Header: Depth=2
	global_load_dword v39, v[24:25], off
	v_add_u32_e32 v38, -1, v38
	s_waitcnt vmcnt(0)
	v_sub_f32_e32 v39, v39, v36
	global_store_dword v[24:25], v39, off
	global_load_dword v41, v[22:23], off
	s_waitcnt vmcnt(0)
	v_div_scale_f32 v42, s[24:25], v39, v39, v41
	v_div_scale_f32 v43, vcc, v41, v39, v41
	v_rcp_f32_e32 v44, v42
	v_fma_f32 v45, -v42, v44, 1.0
	v_fmac_f32_e32 v44, v45, v44
	v_mul_f32_e32 v45, v43, v44
	v_fma_f32 v46, -v42, v45, v43
	v_fmac_f32_e32 v45, v46, v44
	v_fma_f32 v42, -v42, v45, v43
	v_div_fmas_f32 v42, v42, v44, v45
	v_cmp_eq_u32_e32 vcc, 0, v38
	s_or_b64 s[22:23], vcc, s[22:23]
	v_add_co_u32_e32 v24, vcc, 4, v24
	v_addc_co_u32_e32 v25, vcc, 0, v25, vcc
	v_add_co_u32_e32 v22, vcc, 4, v22
	v_addc_co_u32_e32 v23, vcc, 0, v23, vcc
	v_div_fixup_f32 v39, v42, v39, v41
	v_fmac_f32_e32 v40, v41, v39
	v_fmac_f32_e32 v34, v39, v39
	v_add_f32_e32 v37, v37, v40
	s_andn2_b64 exec, exec, s[22:23]
	s_cbranch_execnz .LBB21_114
; %bb.115:                              ;   in Loop: Header=BB21_77 Depth=1
	s_or_b64 exec, exec, s[22:23]
	v_and_b32_e32 v41, 0x7fffffff, v37
.LBB21_116:                             ;   in Loop: Header=BB21_77 Depth=1
	s_or_b64 exec, exec, s[8:9]
	v_mov_b32_e32 v38, 0
	v_mov_b32_e32 v42, 0
	s_and_saveexec_b64 s[8:9], s[4:5]
	s_cbranch_execz .LBB21_75
; %bb.117:                              ;   in Loop: Header=BB21_77 Depth=1
	v_mov_b32_e32 v23, v21
	v_mov_b32_e32 v25, v19
	;; [unrolled: 1-line block ×3, first 2 shown]
	s_mov_b64 s[22:23], 0
	v_mov_b32_e32 v22, v20
	v_mov_b32_e32 v24, v18
	;; [unrolled: 1-line block ×4, first 2 shown]
.LBB21_118:                             ;   Parent Loop BB21_77 Depth=1
                                        ; =>  This Inner Loop Header: Depth=2
	global_load_dword v39, v[24:25], off
	v_add_u32_e32 v37, -1, v37
	s_waitcnt vmcnt(0)
	v_sub_f32_e32 v39, v39, v36
	global_store_dword v[24:25], v39, off
	global_load_dword v43, v[22:23], off
	s_waitcnt vmcnt(0)
	v_div_scale_f32 v44, s[24:25], v39, v39, v43
	v_div_scale_f32 v45, vcc, v43, v39, v43
	v_rcp_f32_e32 v46, v44
	v_fma_f32 v47, -v44, v46, 1.0
	v_fmac_f32_e32 v46, v47, v46
	v_mul_f32_e32 v47, v45, v46
	v_fma_f32 v48, -v44, v47, v45
	v_fmac_f32_e32 v47, v48, v46
	v_fma_f32 v44, -v44, v47, v45
	v_div_fmas_f32 v44, v44, v46, v47
	v_cmp_le_i32_e32 vcc, v37, v10
	s_or_b64 s[22:23], vcc, s[22:23]
	v_add_co_u32_e32 v24, vcc, -4, v24
	v_addc_co_u32_e32 v25, vcc, -1, v25, vcc
	v_add_co_u32_e32 v22, vcc, -4, v22
	v_addc_co_u32_e32 v23, vcc, -1, v23, vcc
	v_div_fixup_f32 v39, v44, v39, v43
	v_fmac_f32_e32 v42, v43, v39
	v_fmac_f32_e32 v38, v39, v39
	v_add_f32_e32 v41, v41, v42
	s_andn2_b64 exec, exec, s[22:23]
	s_cbranch_execnz .LBB21_118
; %bb.119:                              ;   in Loop: Header=BB21_77 Depth=1
	s_or_b64 exec, exec, s[22:23]
	s_branch .LBB21_75
.LBB21_120:
	s_or_b64 exec, exec, s[10:11]
	v_add_f32_e32 v35, v30, v9
.LBB21_121:
	s_or_b64 exec, exec, s[18:19]
                                        ; implicit-def: $vgpr14
                                        ; implicit-def: $vgpr11
                                        ; implicit-def: $vgpr2_vgpr3
                                        ; implicit-def: $vgpr6_vgpr7
                                        ; implicit-def: $vgpr4_vgpr5
                                        ; implicit-def: $vgpr27
                                        ; implicit-def: $vgpr12_vgpr13
.LBB21_122:
	s_andn2_saveexec_b64 s[6:7], s[16:17]
	s_cbranch_execz .LBB21_192
; %bb.123:
	v_ashrrev_i32_e32 v15, 31, v14
	v_lshlrev_b64 v[15:16], 2, v[14:15]
	s_waitcnt vmcnt(0)
	v_fma_f32 v10, |v26|, 0.5, v27
	v_add_co_u32_e32 v8, vcc, v2, v15
	v_addc_co_u32_e32 v9, vcc, v3, v16, vcc
	global_load_dword v21, v[8:9], off offset:-8
	v_cmp_lt_i32_e32 vcc, 2, v14
	v_mov_b32_e32 v22, 0
	s_and_saveexec_b64 s[0:1], vcc
	s_cbranch_execz .LBB21_127
; %bb.124:
	v_mov_b32_e32 v18, v7
	v_mov_b32_e32 v20, v3
	v_add_u32_e32 v23, -2, v14
	v_mov_b32_e32 v22, 0
	s_mov_b64 s[2:3], 0
	v_mov_b32_e32 v17, v6
	v_mov_b32_e32 v19, v2
.LBB21_125:                             ; =>This Inner Loop Header: Depth=1
	global_load_dword v24, v[19:20], off
	global_load_dword v25, v[17:18], off
	v_add_u32_e32 v23, -1, v23
	s_waitcnt vmcnt(1)
	v_sub_f32_e32 v24, v24, v10
	s_waitcnt vmcnt(0)
	v_div_scale_f32 v28, s[4:5], v24, v24, v25
	v_div_scale_f32 v29, vcc, v25, v24, v25
	v_rcp_f32_e32 v30, v28
	v_fma_f32 v31, -v28, v30, 1.0
	v_fmac_f32_e32 v30, v31, v30
	v_mul_f32_e32 v31, v29, v30
	v_fma_f32 v32, -v28, v31, v29
	v_fmac_f32_e32 v31, v32, v30
	v_fma_f32 v28, -v28, v31, v29
	v_div_fmas_f32 v28, v28, v30, v31
	v_add_co_u32_e32 v19, vcc, 4, v19
	v_addc_co_u32_e32 v20, vcc, 0, v20, vcc
	v_add_co_u32_e32 v17, vcc, 4, v17
	v_addc_co_u32_e32 v18, vcc, 0, v18, vcc
	v_cmp_eq_u32_e32 vcc, 0, v23
	s_or_b64 s[2:3], vcc, s[2:3]
	v_div_fixup_f32 v24, v28, v24, v25
	v_fmac_f32_e32 v22, v25, v24
	s_andn2_b64 exec, exec, s[2:3]
	s_cbranch_execnz .LBB21_125
; %bb.126:
	s_or_b64 exec, exec, s[2:3]
.LBB21_127:
	s_or_b64 exec, exec, s[0:1]
	v_add_co_u32_e32 v15, vcc, v6, v15
	v_addc_co_u32_e32 v16, vcc, v7, v16, vcc
	global_load_dword v15, v[15:16], off offset:-8
	v_add_co_u32_e32 v12, vcc, v6, v12
	v_addc_co_u32_e32 v13, vcc, v7, v13, vcc
	global_load_dword v18, v[12:13], off
	v_and_b32_e32 v19, 0x7fffffff, v26
	v_div_scale_f32 v20, s[0:1], v19, v19, 1.0
	s_waitcnt vmcnt(2)
	v_sub_f32_e32 v23, v21, v10
	v_div_scale_f32 v10, vcc, 1.0, v19, 1.0
	v_mul_f32_e64 v17, |v26|, 0.5
	v_sub_f32_e32 v21, v27, v21
	v_rcp_f32_e32 v25, v20
	v_fma_f32 v28, -v20, v25, 1.0
	v_fmac_f32_e32 v25, v28, v25
	v_mul_f32_e32 v28, v10, v25
	v_fma_f32 v29, -v20, v28, v10
	v_fmac_f32_e32 v28, v29, v25
	v_fma_f32 v10, -v20, v28, v10
	v_div_fmas_f32 v10, v10, v25, v28
	v_div_fixup_f32 v10, v10, |v26|, 1.0
	s_waitcnt vmcnt(1)
	v_mul_f32_e32 v16, v15, v15
	v_div_scale_f32 v15, s[0:1], v23, v23, v16
	v_div_scale_f32 v24, s[0:1], v16, v23, v16
	s_mov_b64 vcc, s[0:1]
	v_rcp_f32_e32 v29, v15
	v_fma_f32 v20, -v15, v29, 1.0
	v_fmac_f32_e32 v29, v20, v29
	v_mul_f32_e32 v20, v24, v29
	v_fma_f32 v25, -v15, v20, v24
	v_fmac_f32_e32 v20, v25, v29
	v_fma_f32 v15, -v15, v20, v24
	v_div_fmas_f32 v20, v15, v29, v20
	v_add_f32_e32 v15, v10, v22
	s_waitcnt vmcnt(0)
	v_mul_f32_e32 v22, v18, v18
	v_add_f32_e32 v18, v22, v22
	v_mul_f32_e32 v18, v10, v18
	v_div_fixup_f32 v20, v20, v23, v16
	v_add_f32_e32 v20, v15, v20
	v_cmp_ngt_f32_e32 vcc, v20, v18
                                        ; implicit-def: $vgpr18
	s_and_saveexec_b64 s[0:1], vcc
	s_xor_b64 s[2:3], exec, s[0:1]
	s_cbranch_execz .LBB21_135
; %bb.128:
	v_add_f32_e64 v18, |v26|, v21
	v_div_scale_f32 v23, s[0:1], v18, v18, v16
	v_div_scale_f32 v20, s[0:1], v19, v19, v22
	v_div_scale_f32 v25, vcc, v16, v18, v16
	v_div_scale_f32 v24, s[0:1], v22, v19, v22
	v_rcp_f32_e32 v29, v23
	v_rcp_f32_e32 v28, v20
	v_fma_f32 v31, -v23, v29, 1.0
	v_fmac_f32_e32 v29, v31, v29
	v_fma_f32 v30, -v20, v28, 1.0
	v_fmac_f32_e32 v28, v30, v28
	v_mul_f32_e32 v31, v25, v29
	v_mul_f32_e32 v30, v24, v28
	v_fma_f32 v33, -v23, v31, v25
	v_fma_f32 v32, -v20, v30, v24
	v_fmac_f32_e32 v31, v33, v29
	v_fmac_f32_e32 v30, v32, v28
	v_fma_f32 v23, -v23, v31, v25
	v_fma_f32 v20, -v20, v30, v24
	v_div_fmas_f32 v23, v23, v29, v31
	s_mov_b64 vcc, s[0:1]
	v_div_fmas_f32 v20, v20, v28, v30
	v_div_fixup_f32 v18, v23, v18, v16
	v_div_fixup_f32 v20, v20, |v26|, v22
	v_add_f32_e32 v18, v18, v20
	v_cmp_nle_f32_e32 vcc, v15, v18
	v_mov_b32_e32 v18, v19
	s_and_saveexec_b64 s[4:5], vcc
	s_cbranch_execz .LBB21_134
; %bb.129:
	v_mul_f32_e32 v20, v21, v22
	v_fma_f32 v16, -v21, v15, v16
	v_mul_f32_e32 v18, 4.0, v20
	v_add_f32_e32 v16, v22, v16
	v_mul_f32_e32 v18, v15, v18
	v_fmac_f32_e32 v18, v16, v16
	s_mov_b32 s0, 0xf800000
	v_mul_f32_e32 v21, 0x4f800000, v18
	v_cmp_gt_f32_e32 vcc, s0, v18
	v_cndmask_b32_e32 v18, v18, v21, vcc
	v_sqrt_f32_e32 v21, v18
	v_add_u32_e32 v22, -1, v21
	v_fma_f32 v23, -v22, v21, v18
	v_cmp_ge_f32_e64 s[0:1], 0, v23
	v_add_u32_e32 v23, 1, v21
	v_cndmask_b32_e64 v22, v21, v22, s[0:1]
	v_fma_f32 v21, -v23, v21, v18
	v_cmp_lt_f32_e64 s[0:1], 0, v21
	v_cndmask_b32_e64 v21, v22, v23, s[0:1]
	v_mul_f32_e32 v22, 0x37800000, v21
	v_cndmask_b32_e32 v21, v21, v22, vcc
	v_mov_b32_e32 v22, 0x260
	v_cmp_class_f32_e32 vcc, v18, v22
	v_cndmask_b32_e32 v21, v21, v18, vcc
	v_cmp_ngt_f32_e32 vcc, 0, v16
                                        ; implicit-def: $vgpr18
	s_and_saveexec_b64 s[0:1], vcc
	s_xor_b64 s[0:1], exec, s[0:1]
	s_cbranch_execz .LBB21_131
; %bb.130:
	v_add_f32_e32 v16, v16, v21
	v_add_f32_e32 v15, v15, v15
	v_div_scale_f32 v18, s[8:9], v15, v15, v16
	v_div_scale_f32 v20, vcc, v16, v15, v16
	v_rcp_f32_e32 v21, v18
	v_fma_f32 v22, -v18, v21, 1.0
	v_fmac_f32_e32 v21, v22, v21
	v_mul_f32_e32 v22, v20, v21
	v_fma_f32 v23, -v18, v22, v20
	v_fmac_f32_e32 v22, v23, v21
	v_fma_f32 v18, -v18, v22, v20
	v_div_fmas_f32 v18, v18, v21, v22
                                        ; implicit-def: $vgpr20
                                        ; implicit-def: $vgpr21
	v_div_fixup_f32 v18, v18, v15, v16
                                        ; implicit-def: $vgpr16
.LBB21_131:
	s_andn2_saveexec_b64 s[0:1], s[0:1]
	s_cbranch_execz .LBB21_133
; %bb.132:
	v_add_f32_e32 v15, v20, v20
	v_sub_f32_e32 v16, v21, v16
	v_div_scale_f32 v18, s[8:9], v16, v16, v15
	v_div_scale_f32 v20, vcc, v15, v16, v15
	v_rcp_f32_e32 v21, v18
	v_fma_f32 v22, -v18, v21, 1.0
	v_fmac_f32_e32 v21, v22, v21
	v_mul_f32_e32 v22, v20, v21
	v_fma_f32 v23, -v18, v22, v20
	v_fmac_f32_e32 v22, v23, v21
	v_fma_f32 v18, -v18, v22, v20
	v_div_fmas_f32 v18, v18, v21, v22
	v_div_fixup_f32 v18, v18, v16, v15
.LBB21_133:
	s_or_b64 exec, exec, s[0:1]
.LBB21_134:
	s_or_b64 exec, exec, s[4:5]
                                        ; implicit-def: $vgpr21
                                        ; implicit-def: $vgpr15
                                        ; implicit-def: $vgpr16
                                        ; implicit-def: $vgpr22
.LBB21_135:
	s_or_saveexec_b64 s[2:3], s[2:3]
	v_mov_b32_e32 v20, v17
	s_xor_b64 exec, exec, s[2:3]
	s_cbranch_execz .LBB21_141
; %bb.136:
	v_mul_f32_e32 v19, v21, v22
	v_fma_f32 v16, -v21, v15, v16
	v_mul_f32_e32 v18, 4.0, v19
	v_add_f32_e32 v16, v22, v16
	v_mul_f32_e32 v18, v15, v18
	v_fmac_f32_e32 v18, v16, v16
	s_mov_b32 s0, 0xf800000
	v_mul_f32_e32 v20, 0x4f800000, v18
	v_cmp_gt_f32_e32 vcc, s0, v18
	v_cndmask_b32_e32 v18, v18, v20, vcc
	v_sqrt_f32_e32 v20, v18
	v_add_u32_e32 v21, -1, v20
	v_fma_f32 v22, -v21, v20, v18
	v_cmp_ge_f32_e64 s[0:1], 0, v22
	v_add_u32_e32 v22, 1, v20
	v_cndmask_b32_e64 v21, v20, v21, s[0:1]
	v_fma_f32 v20, -v22, v20, v18
	v_cmp_lt_f32_e64 s[0:1], 0, v20
	v_cndmask_b32_e64 v20, v21, v22, s[0:1]
	v_mul_f32_e32 v21, 0x37800000, v20
	v_cndmask_b32_e32 v20, v20, v21, vcc
	v_mov_b32_e32 v21, 0x260
	v_cmp_class_f32_e32 vcc, v18, v21
	v_cndmask_b32_e32 v20, v20, v18, vcc
	v_cmp_ngt_f32_e32 vcc, 0, v16
                                        ; implicit-def: $vgpr18
	s_and_saveexec_b64 s[0:1], vcc
	s_xor_b64 s[0:1], exec, s[0:1]
	s_cbranch_execz .LBB21_138
; %bb.137:
	v_add_f32_e32 v16, v16, v20
	v_add_f32_e32 v15, v15, v15
	v_div_scale_f32 v18, s[4:5], v15, v15, v16
	v_div_scale_f32 v19, vcc, v16, v15, v16
	v_rcp_f32_e32 v20, v18
	v_fma_f32 v21, -v18, v20, 1.0
	v_fmac_f32_e32 v20, v21, v20
	v_mul_f32_e32 v21, v19, v20
	v_fma_f32 v22, -v18, v21, v19
	v_fmac_f32_e32 v21, v22, v20
	v_fma_f32 v18, -v18, v21, v19
	v_div_fmas_f32 v18, v18, v20, v21
                                        ; implicit-def: $vgpr19
                                        ; implicit-def: $vgpr20
	v_div_fixup_f32 v18, v18, v15, v16
                                        ; implicit-def: $vgpr16
.LBB21_138:
	s_andn2_saveexec_b64 s[0:1], s[0:1]
	s_cbranch_execz .LBB21_140
; %bb.139:
	v_add_f32_e32 v15, v19, v19
	v_sub_f32_e32 v16, v20, v16
	v_div_scale_f32 v18, s[4:5], v16, v16, v15
	v_div_scale_f32 v19, vcc, v15, v16, v15
	v_rcp_f32_e32 v20, v18
	v_fma_f32 v21, -v18, v20, 1.0
	v_fmac_f32_e32 v20, v21, v20
	v_mul_f32_e32 v21, v19, v20
	v_fma_f32 v22, -v18, v21, v19
	v_fmac_f32_e32 v21, v22, v20
	v_fma_f32 v18, -v18, v21, v19
	v_div_fmas_f32 v18, v18, v20, v21
	v_div_fixup_f32 v18, v18, v16, v15
.LBB21_140:
	s_or_b64 exec, exec, s[0:1]
	v_mov_b32_e32 v20, 0
	v_mov_b32_e32 v19, v17
.LBB21_141:
	s_or_b64 exec, exec, s[2:3]
	v_cmp_lt_i32_e64 s[0:1], 1, v14
	v_mov_b32_e32 v14, v27
	s_and_saveexec_b64 s[2:3], s[0:1]
	s_cbranch_execz .LBB21_145
; %bb.142:
	v_mov_b32_e32 v15, v3
	s_mov_b64 s[4:5], 0
	v_mov_b32_e32 v14, v2
	v_mov_b32_e32 v16, v11
.LBB21_143:                             ; =>This Inner Loop Header: Depth=1
	global_load_dword v17, v[14:15], off
	v_add_u32_e32 v16, -1, v16
	v_cmp_eq_u32_e32 vcc, 0, v16
	s_or_b64 s[4:5], vcc, s[4:5]
	s_waitcnt vmcnt(0)
	v_sub_f32_e32 v17, v17, v27
	global_store_dword v[14:15], v17, off
	v_add_co_u32_e32 v14, vcc, 4, v14
	v_addc_co_u32_e32 v15, vcc, 0, v15, vcc
	s_andn2_b64 exec, exec, s[4:5]
	s_cbranch_execnz .LBB21_143
; %bb.144:
	s_or_b64 exec, exec, s[4:5]
	global_load_dword v14, v[4:5], off
.LBB21_145:
	s_or_b64 exec, exec, s[2:3]
	s_waitcnt vmcnt(0)
	v_sub_f32_e32 v14, v14, v27
	v_mov_b32_e32 v21, 0
	v_mov_b32_e32 v15, 0
	;; [unrolled: 1-line block ×3, first 2 shown]
	global_store_dword v[4:5], v14, off
	s_and_saveexec_b64 s[2:3], s[0:1]
	s_cbranch_execz .LBB21_149
; %bb.146:
	v_mov_b32_e32 v15, v7
	v_mov_b32_e32 v17, v3
	;; [unrolled: 1-line block ×3, first 2 shown]
	s_mov_b64 s[4:5], 0
	v_mov_b32_e32 v14, v6
	v_mov_b32_e32 v16, v2
	;; [unrolled: 1-line block ×5, first 2 shown]
.LBB21_147:                             ; =>This Inner Loop Header: Depth=1
	global_load_dword v25, v[16:17], off
	v_add_u32_e32 v24, -1, v24
	s_waitcnt vmcnt(0)
	v_sub_f32_e32 v25, v25, v18
	global_store_dword v[16:17], v25, off
	global_load_dword v28, v[14:15], off
	s_waitcnt vmcnt(0)
	v_div_scale_f32 v29, s[8:9], v25, v25, v28
	v_div_scale_f32 v30, vcc, v28, v25, v28
	v_rcp_f32_e32 v31, v29
	v_fma_f32 v32, -v29, v31, 1.0
	v_fmac_f32_e32 v31, v32, v31
	v_mul_f32_e32 v32, v30, v31
	v_fma_f32 v33, -v29, v32, v30
	v_fmac_f32_e32 v32, v33, v31
	v_fma_f32 v29, -v29, v32, v30
	v_div_fmas_f32 v29, v29, v31, v32
	v_cmp_eq_u32_e32 vcc, 0, v24
	s_or_b64 s[4:5], vcc, s[4:5]
	v_add_co_u32_e32 v16, vcc, 4, v16
	v_addc_co_u32_e32 v17, vcc, 0, v17, vcc
	v_add_co_u32_e32 v14, vcc, 4, v14
	v_addc_co_u32_e32 v15, vcc, 0, v15, vcc
	v_div_fixup_f32 v25, v29, v25, v28
	v_fmac_f32_e32 v22, v28, v25
	v_fmac_f32_e32 v21, v25, v25
	v_add_f32_e32 v23, v23, v22
	s_andn2_b64 exec, exec, s[4:5]
	s_cbranch_execnz .LBB21_147
; %bb.148:
	s_or_b64 exec, exec, s[4:5]
	global_load_dword v14, v[4:5], off
	v_and_b32_e32 v15, 0x7fffffff, v23
.LBB21_149:
	s_or_b64 exec, exec, s[2:3]
	s_waitcnt vmcnt(0)
	v_sub_f32_e32 v14, v14, v18
	global_store_dword v[4:5], v14, off
	global_load_dword v16, v[12:13], off
	s_waitcnt vmcnt(0)
	v_div_scale_f32 v17, s[2:3], v14, v14, v16
	v_div_scale_f32 v23, vcc, v16, v14, v16
	v_rcp_f32_e32 v24, v17
	v_fma_f32 v25, -v17, v24, 1.0
	v_fmac_f32_e32 v24, v25, v24
	v_mul_f32_e32 v25, v23, v24
	v_fma_f32 v28, -v17, v25, v23
	v_fmac_f32_e32 v25, v28, v24
	v_fma_f32 v17, -v17, v25, v23
	v_div_fmas_f32 v17, v17, v24, v25
	v_add_f32_e32 v23, v10, v22
	v_div_fixup_f32 v17, v17, v14, v16
	v_fma_f32 v24, v16, v17, 0
	v_add_f32_e32 v22, v22, v24
	v_fma_f32 v16, v17, v17, v21
	v_mul_f32_e32 v22, 0xc1000000, v22
	v_fma_f32 v22, |v18|, v16, v22
	v_sub_f32_e32 v22, v22, v24
	v_add_f32_e32 v25, v15, v24
	v_add_f32_e32 v22, v10, v22
	;; [unrolled: 1-line block ×4, first 2 shown]
	v_mul_f32_e32 v22, s35, v22
	v_cmp_nle_f32_e64 s[2:3], |v15|, v22
	s_and_saveexec_b64 s[8:9], s[2:3]
	s_cbranch_execz .LBB21_191
; %bb.150:
	global_load_dword v23, v[8:9], off offset:-8
	v_mul_f32_e32 v17, v17, v17
	v_cmp_lt_f32_e32 vcc, 0, v15
	v_cmp_lt_f32_e64 s[2:3], v18, v19
	s_and_b64 s[2:3], s[2:3], vcc
	s_waitcnt vmcnt(0)
	v_fma_f32 v21, -v21, v23, v15
	v_fma_f32 v22, -v14, v17, v21
	v_cmp_neq_f32_e32 vcc, 0, v22
                                        ; implicit-def: $vgpr21
	s_and_saveexec_b64 s[4:5], vcc
	s_xor_b64 s[10:11], exec, s[4:5]
	s_cbranch_execz .LBB21_156
; %bb.151:
	v_mul_f32_e32 v21, v14, v23
	v_add_f32_e32 v17, v14, v23
	v_mul_f32_e32 v23, v16, v21
	v_fma_f32 v17, v15, v17, -v23
	v_mul_f32_e32 v23, v15, v21
	v_mul_f32_e32 v21, -4.0, v23
	v_mul_f32_e64 v21, v21, |v22|
	v_fmac_f32_e32 v21, v17, v17
	s_mov_b32 s4, 0xf800000
	s_mov_b32 s5, 0x4f800000
	v_mul_f32_e64 v24, |v21|, s5
	v_cmp_lt_f32_e64 vcc, |v21|, s4
	v_cndmask_b32_e64 v21, |v21|, v24, vcc
	v_sqrt_f32_e32 v24, v21
	v_add_u32_e32 v25, -1, v24
	v_fma_f32 v28, -v25, v24, v21
	v_cmp_ge_f32_e64 s[4:5], 0, v28
	v_add_u32_e32 v28, 1, v24
	v_cndmask_b32_e64 v25, v24, v25, s[4:5]
	v_fma_f32 v24, -v28, v24, v21
	v_cmp_lt_f32_e64 s[4:5], 0, v24
	v_cndmask_b32_e64 v24, v25, v28, s[4:5]
	v_mul_f32_e32 v25, 0x37800000, v24
	v_cndmask_b32_e32 v24, v24, v25, vcc
	v_mov_b32_e32 v25, 0x260
	v_cmp_class_f32_e32 vcc, v21, v25
	v_cndmask_b32_e32 v24, v24, v21, vcc
	v_cmp_le_f32_e32 vcc, 0, v17
                                        ; implicit-def: $vgpr21
	s_and_saveexec_b64 s[4:5], vcc
	s_xor_b64 s[4:5], exec, s[4:5]
	s_cbranch_execz .LBB21_153
; %bb.152:
	v_add_f32_e32 v17, v17, v24
	v_add_f32_e64 v21, |v22|, |v22|
	v_div_scale_f32 v22, s[12:13], v21, v21, v17
	v_div_scale_f32 v23, vcc, v17, v21, v17
	v_rcp_f32_e32 v24, v22
	v_fma_f32 v25, -v22, v24, 1.0
	v_fmac_f32_e32 v24, v25, v24
	v_mul_f32_e32 v25, v23, v24
	v_fma_f32 v28, -v22, v25, v23
	v_fmac_f32_e32 v25, v28, v24
	v_fma_f32 v22, -v22, v25, v23
	v_div_fmas_f32 v22, v22, v24, v25
                                        ; implicit-def: $vgpr23
                                        ; implicit-def: $vgpr24
	v_div_fixup_f32 v21, v22, v21, v17
                                        ; implicit-def: $vgpr17
.LBB21_153:
	s_andn2_saveexec_b64 s[4:5], s[4:5]
	s_cbranch_execz .LBB21_155
; %bb.154:
	v_add_f32_e32 v21, v23, v23
	v_sub_f32_e32 v17, v17, v24
	v_div_scale_f32 v22, s[12:13], v17, v17, v21
	v_div_scale_f32 v23, vcc, v21, v17, v21
	v_rcp_f32_e32 v24, v22
	v_fma_f32 v25, -v22, v24, 1.0
	v_fmac_f32_e32 v24, v25, v24
	v_mul_f32_e32 v25, v23, v24
	v_fma_f32 v28, -v22, v25, v23
	v_fmac_f32_e32 v25, v28, v24
	v_fma_f32 v22, -v22, v25, v23
	v_div_fmas_f32 v22, v22, v24, v25
	v_div_fixup_f32 v21, v22, v17, v21
.LBB21_155:
	s_or_b64 exec, exec, s[4:5]
.LBB21_156:
	s_or_saveexec_b64 s[4:5], s[10:11]
	v_cndmask_b32_e64 v19, v19, v18, s[2:3]
	s_xor_b64 exec, exec, s[4:5]
; %bb.157:
	v_sub_f32_e32 v21, v19, v18
; %bb.158:
	s_or_b64 exec, exec, s[4:5]
	v_mul_f32_e32 v17, v15, v21
	v_cmp_lt_f32_e32 vcc, 0, v17
	s_and_saveexec_b64 s[2:3], vcc
	s_cbranch_execz .LBB21_160
; %bb.159:
	v_div_scale_f32 v17, s[4:5], v16, v16, -v15
	v_div_scale_f32 v21, vcc, -v15, v16, -v15
	v_rcp_f32_e32 v22, v17
	v_fma_f32 v23, -v17, v22, 1.0
	v_fmac_f32_e32 v22, v23, v22
	v_mul_f32_e32 v23, v21, v22
	v_fma_f32 v24, -v17, v23, v21
	v_fmac_f32_e32 v23, v24, v22
	v_fma_f32 v17, -v17, v23, v21
	v_div_fmas_f32 v17, v17, v22, v23
	v_div_fixup_f32 v21, v17, v16, -v15
.LBB21_160:
	s_or_b64 exec, exec, s[2:3]
	v_cmp_lt_f32_e32 vcc, v20, v18
	v_cndmask_b32_e32 v16, v20, v18, vcc
	v_cmp_nge_f32_e32 vcc, 0, v15
	v_cndmask_b32_e32 v20, v16, v20, vcc
	v_add_f32_e32 v16, v18, v21
	v_cmp_gt_f32_e32 vcc, v16, v19
	v_cmp_lt_f32_e64 s[2:3], v16, v20
	s_or_b64 s[4:5], vcc, s[2:3]
	s_and_saveexec_b64 s[2:3], s[4:5]
	s_cbranch_execz .LBB21_166
; %bb.161:
	v_cmp_ngt_f32_e32 vcc, 0, v15
                                        ; implicit-def: $vgpr21
	s_and_saveexec_b64 s[4:5], vcc
	s_xor_b64 s[4:5], exec, s[4:5]
; %bb.162:
	v_sub_f32_e32 v15, v20, v18
	v_mul_f32_e32 v21, 0.5, v15
; %bb.163:
	s_andn2_saveexec_b64 s[4:5], s[4:5]
; %bb.164:
	v_sub_f32_e32 v15, v19, v18
	v_mul_f32_e32 v21, 0.5, v15
; %bb.165:
	s_or_b64 exec, exec, s[4:5]
.LBB21_166:
	s_or_b64 exec, exec, s[2:3]
	v_mov_b32_e32 v22, 0
	v_mov_b32_e32 v15, 0
	;; [unrolled: 1-line block ×3, first 2 shown]
	s_and_saveexec_b64 s[2:3], s[0:1]
	s_cbranch_execz .LBB21_170
; %bb.167:
	v_mov_b32_e32 v15, v7
	v_mov_b32_e32 v17, v3
	;; [unrolled: 1-line block ×3, first 2 shown]
	s_mov_b64 s[4:5], 0
	v_mov_b32_e32 v14, v6
	v_mov_b32_e32 v16, v2
	;; [unrolled: 1-line block ×5, first 2 shown]
.LBB21_168:                             ; =>This Inner Loop Header: Depth=1
	global_load_dword v28, v[16:17], off
	v_add_u32_e32 v25, -1, v25
	s_waitcnt vmcnt(0)
	v_sub_f32_e32 v28, v28, v21
	global_store_dword v[16:17], v28, off
	global_load_dword v29, v[14:15], off
	s_waitcnt vmcnt(0)
	v_div_scale_f32 v30, s[10:11], v28, v28, v29
	v_div_scale_f32 v31, vcc, v29, v28, v29
	v_rcp_f32_e32 v32, v30
	v_fma_f32 v33, -v30, v32, 1.0
	v_fmac_f32_e32 v32, v33, v32
	v_mul_f32_e32 v33, v31, v32
	v_fma_f32 v34, -v30, v33, v31
	v_fmac_f32_e32 v33, v34, v32
	v_fma_f32 v30, -v30, v33, v31
	v_div_fmas_f32 v30, v30, v32, v33
	v_cmp_eq_u32_e32 vcc, 0, v25
	s_or_b64 s[4:5], vcc, s[4:5]
	v_add_co_u32_e32 v16, vcc, 4, v16
	v_addc_co_u32_e32 v17, vcc, 0, v17, vcc
	v_add_co_u32_e32 v14, vcc, 4, v14
	v_addc_co_u32_e32 v15, vcc, 0, v15, vcc
	v_div_fixup_f32 v28, v30, v28, v29
	v_fmac_f32_e32 v23, v29, v28
	v_fmac_f32_e32 v22, v28, v28
	v_add_f32_e32 v24, v24, v23
	s_andn2_b64 exec, exec, s[4:5]
	s_cbranch_execnz .LBB21_168
; %bb.169:
	s_or_b64 exec, exec, s[4:5]
	global_load_dword v14, v[4:5], off
	v_and_b32_e32 v15, 0x7fffffff, v24
.LBB21_170:
	s_or_b64 exec, exec, s[2:3]
	s_waitcnt vmcnt(0)
	v_sub_f32_e32 v14, v14, v21
	global_store_dword v[4:5], v14, off
	global_load_dword v17, v[12:13], off
	v_add_f32_e32 v18, v18, v21
	v_add_f32_e32 v21, v10, v23
	s_waitcnt vmcnt(0)
	v_div_scale_f32 v16, s[2:3], v14, v14, v17
	v_div_scale_f32 v24, vcc, v17, v14, v17
	v_rcp_f32_e32 v25, v16
	v_fma_f32 v28, -v16, v25, 1.0
	v_fmac_f32_e32 v25, v28, v25
	v_mul_f32_e32 v28, v24, v25
	v_fma_f32 v29, -v16, v28, v24
	v_fmac_f32_e32 v28, v29, v25
	v_fma_f32 v16, -v16, v28, v24
	v_div_fmas_f32 v16, v16, v25, v28
	v_div_fixup_f32 v16, v16, v14, v17
	v_fma_f32 v17, v17, v16, 0
	v_add_f32_e32 v25, v15, v17
	v_add_f32_e32 v15, v21, v17
	;; [unrolled: 1-line block ×3, first 2 shown]
	v_fma_f32 v24, v16, v16, v22
	v_mul_f32_e32 v21, 0xc1000000, v21
	v_fma_f32 v21, |v18|, v24, v21
	v_sub_f32_e32 v17, v21, v17
	v_add_f32_e32 v17, v10, v17
	v_add_f32_e32 v17, v25, v17
	v_mul_f32_e32 v17, s35, v17
	v_cmp_nle_f32_e64 s[2:3], |v15|, v17
	s_and_saveexec_b64 s[4:5], s[2:3]
	s_cbranch_execz .LBB21_190
; %bb.171:
	v_mul_f32_e32 v17, v16, v16
	s_mov_b32 s16, 1
	s_mov_b64 s[10:11], 0
	s_mov_b32 s14, 0xf800000
	s_mov_b32 s15, 0x4f800000
	v_mov_b32_e32 v21, 0x260
	s_branch .LBB21_173
.LBB21_172:                             ;   in Loop: Header=BB21_173 Depth=1
	s_or_b64 exec, exec, s[2:3]
	s_waitcnt vmcnt(0)
	v_sub_f32_e32 v14, v14, v23
	global_store_dword v[4:5], v14, off
	global_load_dword v16, v[12:13], off
	v_add_f32_e32 v18, v18, v23
	v_add_f32_e32 v23, v10, v24
	s_add_i32 s17, s16, 1
	s_cmp_gt_u32 s16, 48
	s_mov_b32 s16, s17
	s_waitcnt vmcnt(0)
	v_div_scale_f32 v17, s[2:3], v14, v14, v16
	v_div_scale_f32 v25, vcc, v16, v14, v16
	s_cselect_b64 s[2:3], -1, 0
	v_rcp_f32_e32 v28, v17
	v_fma_f32 v29, -v17, v28, 1.0
	v_fmac_f32_e32 v28, v29, v28
	v_mul_f32_e32 v29, v25, v28
	v_fma_f32 v30, -v17, v29, v25
	v_fmac_f32_e32 v29, v30, v28
	v_fma_f32 v17, -v17, v29, v25
	v_div_fmas_f32 v17, v17, v28, v29
	v_div_fixup_f32 v25, v17, v14, v16
	v_fma_f32 v16, v16, v25, 0
	v_add_f32_e32 v28, v15, v16
	v_add_f32_e32 v15, v23, v16
	;; [unrolled: 1-line block ×3, first 2 shown]
	v_mul_f32_e32 v17, v25, v25
	v_fma_f32 v25, v25, v25, v22
	v_mul_f32_e32 v23, 0xc1000000, v23
	v_fma_f32 v23, |v18|, v25, v23
	v_sub_f32_e32 v16, v23, v16
	v_add_f32_e32 v16, v10, v16
	v_add_f32_e32 v16, v28, v16
	v_mul_f32_e32 v16, s35, v16
	v_cmp_le_f32_e64 s[12:13], |v15|, v16
	s_or_b64 s[2:3], s[2:3], s[12:13]
	s_and_b64 s[2:3], exec, s[2:3]
	s_or_b64 s[10:11], s[2:3], s[10:11]
	s_andn2_b64 exec, exec, s[10:11]
	s_cbranch_execz .LBB21_189
.LBB21_173:                             ; =>This Loop Header: Depth=1
                                        ;     Child Loop BB21_187 Depth 2
	global_load_dword v23, v[8:9], off offset:-8
	v_add_f32_e32 v16, v17, v22
	s_waitcnt vmcnt(0)
	v_fma_f32 v22, -v22, v23, v15
	v_add_f32_e32 v25, v14, v23
	v_mul_f32_e32 v23, v14, v23
	v_fma_f32 v24, -v14, v17, v22
	v_mul_f32_e32 v22, v15, v23
	v_mul_f32_e32 v17, v16, v23
	v_mul_f32_e32 v23, -4.0, v22
	v_fma_f32 v17, v15, v25, -v17
	v_mul_f32_e32 v23, v23, v24
	v_fmac_f32_e32 v23, v17, v17
	v_mul_f32_e64 v25, |v23|, s15
	v_cmp_lt_f32_e64 vcc, |v23|, s14
	v_cndmask_b32_e64 v23, |v23|, v25, vcc
	v_sqrt_f32_e32 v25, v23
	v_add_u32_e32 v28, -1, v25
	v_add_u32_e32 v29, 1, v25
	v_fma_f32 v30, -v28, v25, v23
	v_fma_f32 v31, -v29, v25, v23
	v_cmp_ge_f32_e64 s[2:3], 0, v30
	v_cndmask_b32_e64 v25, v25, v28, s[2:3]
	v_cmp_lt_f32_e64 s[2:3], 0, v31
	v_cndmask_b32_e64 v25, v25, v29, s[2:3]
	v_mul_f32_e32 v28, 0x37800000, v25
	v_cndmask_b32_e32 v25, v25, v28, vcc
	v_cmp_class_f32_e32 vcc, v23, v21
	v_cndmask_b32_e32 v25, v25, v23, vcc
	v_cmp_le_f32_e32 vcc, 0, v17
                                        ; implicit-def: $vgpr23
	s_and_saveexec_b64 s[2:3], vcc
	s_xor_b64 s[2:3], exec, s[2:3]
	s_cbranch_execz .LBB21_175
; %bb.174:                              ;   in Loop: Header=BB21_173 Depth=1
	v_add_f32_e32 v17, v17, v25
	v_add_f32_e32 v22, v24, v24
	v_div_scale_f32 v23, s[12:13], v22, v22, v17
	v_div_scale_f32 v24, vcc, v17, v22, v17
	v_rcp_f32_e32 v25, v23
	v_fma_f32 v28, -v23, v25, 1.0
	v_fmac_f32_e32 v25, v28, v25
	v_mul_f32_e32 v28, v24, v25
	v_fma_f32 v29, -v23, v28, v24
	v_fmac_f32_e32 v28, v29, v25
	v_fma_f32 v23, -v23, v28, v24
	v_div_fmas_f32 v23, v23, v25, v28
                                        ; implicit-def: $vgpr25
	v_div_fixup_f32 v23, v23, v22, v17
                                        ; implicit-def: $vgpr22
                                        ; implicit-def: $vgpr17
.LBB21_175:                             ;   in Loop: Header=BB21_173 Depth=1
	s_andn2_saveexec_b64 s[2:3], s[2:3]
	s_cbranch_execz .LBB21_177
; %bb.176:                              ;   in Loop: Header=BB21_173 Depth=1
	v_add_f32_e32 v22, v22, v22
	v_sub_f32_e32 v17, v17, v25
	v_div_scale_f32 v23, s[12:13], v17, v17, v22
	v_div_scale_f32 v24, vcc, v22, v17, v22
	v_rcp_f32_e32 v25, v23
	v_fma_f32 v28, -v23, v25, 1.0
	v_fmac_f32_e32 v25, v28, v25
	v_mul_f32_e32 v28, v24, v25
	v_fma_f32 v29, -v23, v28, v24
	v_fmac_f32_e32 v28, v29, v25
	v_fma_f32 v23, -v23, v28, v24
	v_div_fmas_f32 v23, v23, v25, v28
	v_div_fixup_f32 v23, v23, v17, v22
.LBB21_177:                             ;   in Loop: Header=BB21_173 Depth=1
	s_or_b64 exec, exec, s[2:3]
	v_mul_f32_e32 v17, v15, v23
	v_cmp_lt_f32_e32 vcc, 0, v17
	s_and_saveexec_b64 s[2:3], vcc
	s_cbranch_execz .LBB21_179
; %bb.178:                              ;   in Loop: Header=BB21_173 Depth=1
	v_div_scale_f32 v17, s[12:13], v16, v16, -v15
	v_div_scale_f32 v22, vcc, -v15, v16, -v15
	v_rcp_f32_e32 v23, v17
	v_fma_f32 v24, -v17, v23, 1.0
	v_fmac_f32_e32 v23, v24, v23
	v_mul_f32_e32 v24, v22, v23
	v_fma_f32 v25, -v17, v24, v22
	v_fmac_f32_e32 v24, v25, v23
	v_fma_f32 v17, -v17, v24, v22
	v_div_fmas_f32 v17, v17, v23, v24
	v_div_fixup_f32 v23, v17, v16, -v15
.LBB21_179:                             ;   in Loop: Header=BB21_173 Depth=1
	s_or_b64 exec, exec, s[2:3]
	v_cmp_lt_f32_e32 vcc, v20, v18
	v_cndmask_b32_e32 v16, v20, v18, vcc
	v_cmp_nge_f32_e32 vcc, 0, v15
	v_cndmask_b32_e32 v20, v16, v20, vcc
	v_cmp_lt_f32_e32 vcc, 0, v15
	v_cmp_lt_f32_e64 s[2:3], v18, v19
	s_and_b64 vcc, vcc, s[2:3]
	v_cndmask_b32_e32 v19, v19, v18, vcc
	v_add_f32_e32 v16, v18, v23
	v_cmp_gt_f32_e32 vcc, v16, v19
	v_cmp_lt_f32_e64 s[2:3], v16, v20
	s_or_b64 s[12:13], vcc, s[2:3]
	s_and_saveexec_b64 s[2:3], s[12:13]
	s_cbranch_execz .LBB21_185
; %bb.180:                              ;   in Loop: Header=BB21_173 Depth=1
	v_cmp_ngt_f32_e32 vcc, 0, v15
                                        ; implicit-def: $vgpr23
	s_and_saveexec_b64 s[12:13], vcc
	s_xor_b64 s[12:13], exec, s[12:13]
; %bb.181:                              ;   in Loop: Header=BB21_173 Depth=1
	v_sub_f32_e32 v15, v20, v18
	v_mul_f32_e32 v23, 0.5, v15
; %bb.182:                              ;   in Loop: Header=BB21_173 Depth=1
	s_andn2_saveexec_b64 s[12:13], s[12:13]
; %bb.183:                              ;   in Loop: Header=BB21_173 Depth=1
	v_sub_f32_e32 v15, v19, v18
	v_mul_f32_e32 v23, 0.5, v15
; %bb.184:                              ;   in Loop: Header=BB21_173 Depth=1
	s_or_b64 exec, exec, s[12:13]
.LBB21_185:                             ;   in Loop: Header=BB21_173 Depth=1
	s_or_b64 exec, exec, s[2:3]
	v_mov_b32_e32 v22, 0
	v_mov_b32_e32 v15, 0
	;; [unrolled: 1-line block ×3, first 2 shown]
	s_and_saveexec_b64 s[2:3], s[0:1]
	s_cbranch_execz .LBB21_172
; %bb.186:                              ;   in Loop: Header=BB21_173 Depth=1
	v_mov_b32_e32 v15, v7
	v_mov_b32_e32 v17, v3
	v_mov_b32_e32 v22, 0
	s_mov_b64 s[12:13], 0
	v_mov_b32_e32 v14, v6
	v_mov_b32_e32 v16, v2
	;; [unrolled: 1-line block ×5, first 2 shown]
.LBB21_187:                             ;   Parent Loop BB21_173 Depth=1
                                        ; =>  This Inner Loop Header: Depth=2
	global_load_dword v29, v[16:17], off
	v_add_u32_e32 v28, -1, v28
	s_waitcnt vmcnt(0)
	v_sub_f32_e32 v29, v29, v23
	global_store_dword v[16:17], v29, off
	global_load_dword v30, v[14:15], off
	s_waitcnt vmcnt(0)
	v_div_scale_f32 v31, s[18:19], v29, v29, v30
	v_div_scale_f32 v32, vcc, v30, v29, v30
	v_rcp_f32_e32 v33, v31
	v_fma_f32 v34, -v31, v33, 1.0
	v_fmac_f32_e32 v33, v34, v33
	v_mul_f32_e32 v34, v32, v33
	v_fma_f32 v35, -v31, v34, v32
	v_fmac_f32_e32 v34, v35, v33
	v_fma_f32 v31, -v31, v34, v32
	v_div_fmas_f32 v31, v31, v33, v34
	v_cmp_eq_u32_e32 vcc, 0, v28
	s_or_b64 s[12:13], vcc, s[12:13]
	v_add_co_u32_e32 v16, vcc, 4, v16
	v_addc_co_u32_e32 v17, vcc, 0, v17, vcc
	v_add_co_u32_e32 v14, vcc, 4, v14
	v_addc_co_u32_e32 v15, vcc, 0, v15, vcc
	v_div_fixup_f32 v29, v31, v29, v30
	v_fmac_f32_e32 v24, v30, v29
	v_fmac_f32_e32 v22, v29, v29
	v_add_f32_e32 v25, v25, v24
	s_andn2_b64 exec, exec, s[12:13]
	s_cbranch_execnz .LBB21_187
; %bb.188:                              ;   in Loop: Header=BB21_173 Depth=1
	s_or_b64 exec, exec, s[12:13]
	global_load_dword v14, v[4:5], off
	v_and_b32_e32 v15, 0x7fffffff, v25
	s_branch .LBB21_172
.LBB21_189:
	s_or_b64 exec, exec, s[10:11]
.LBB21_190:
	s_or_b64 exec, exec, s[4:5]
.LBB21_191:
	s_or_b64 exec, exec, s[8:9]
	v_add_f32_e32 v35, v27, v18
.LBB21_192:
	s_or_b64 exec, exec, s[6:7]
	v_mov_b32_e32 v2, s34
	v_add_co_u32_e32 v0, vcc, s33, v0
	v_addc_co_u32_e32 v1, vcc, v2, v1, vcc
	s_waitcnt vmcnt(1)
	v_cmp_gt_f32_e32 vcc, 0, v26
	global_store_dword v[0:1], v35, off
	s_and_b64 exec, exec, vcc
	s_cbranch_execz .LBB21_194
; %bb.193:
	v_xor_b32_e32 v2, 0x80000000, v35
	global_store_dword v[0:1], v2, off
.LBB21_194:
	s_endpgm
	.section	.rodata,"a",@progbits
	.p2align	6, 0x0
	.amdhsa_kernel _ZN9rocsolver6v33100L30stedc_mergeValues_Solve_kernelIfEEviiPT_lS3_lS3_S3_PiS2_S2_S2_
		.amdhsa_group_segment_fixed_size 0
		.amdhsa_private_segment_fixed_size 0
		.amdhsa_kernarg_size 336
		.amdhsa_user_sgpr_count 6
		.amdhsa_user_sgpr_private_segment_buffer 1
		.amdhsa_user_sgpr_dispatch_ptr 0
		.amdhsa_user_sgpr_queue_ptr 0
		.amdhsa_user_sgpr_kernarg_segment_ptr 1
		.amdhsa_user_sgpr_dispatch_id 0
		.amdhsa_user_sgpr_flat_scratch_init 0
		.amdhsa_user_sgpr_private_segment_size 0
		.amdhsa_uses_dynamic_stack 0
		.amdhsa_system_sgpr_private_segment_wavefront_offset 0
		.amdhsa_system_sgpr_workgroup_id_x 1
		.amdhsa_system_sgpr_workgroup_id_y 1
		.amdhsa_system_sgpr_workgroup_id_z 0
		.amdhsa_system_sgpr_workgroup_info 0
		.amdhsa_system_vgpr_workitem_id 0
		.amdhsa_next_free_vgpr 52
		.amdhsa_next_free_sgpr 37
		.amdhsa_reserve_vcc 1
		.amdhsa_reserve_flat_scratch 0
		.amdhsa_float_round_mode_32 0
		.amdhsa_float_round_mode_16_64 0
		.amdhsa_float_denorm_mode_32 3
		.amdhsa_float_denorm_mode_16_64 3
		.amdhsa_dx10_clamp 1
		.amdhsa_ieee_mode 1
		.amdhsa_fp16_overflow 0
		.amdhsa_exception_fp_ieee_invalid_op 0
		.amdhsa_exception_fp_denorm_src 0
		.amdhsa_exception_fp_ieee_div_zero 0
		.amdhsa_exception_fp_ieee_overflow 0
		.amdhsa_exception_fp_ieee_underflow 0
		.amdhsa_exception_fp_ieee_inexact 0
		.amdhsa_exception_int_div_zero 0
	.end_amdhsa_kernel
	.section	.text._ZN9rocsolver6v33100L30stedc_mergeValues_Solve_kernelIfEEviiPT_lS3_lS3_S3_PiS2_S2_S2_,"axG",@progbits,_ZN9rocsolver6v33100L30stedc_mergeValues_Solve_kernelIfEEviiPT_lS3_lS3_S3_PiS2_S2_S2_,comdat
.Lfunc_end21:
	.size	_ZN9rocsolver6v33100L30stedc_mergeValues_Solve_kernelIfEEviiPT_lS3_lS3_S3_PiS2_S2_S2_, .Lfunc_end21-_ZN9rocsolver6v33100L30stedc_mergeValues_Solve_kernelIfEEviiPT_lS3_lS3_S3_PiS2_S2_S2_
                                        ; -- End function
	.set _ZN9rocsolver6v33100L30stedc_mergeValues_Solve_kernelIfEEviiPT_lS3_lS3_S3_PiS2_S2_S2_.num_vgpr, 52
	.set _ZN9rocsolver6v33100L30stedc_mergeValues_Solve_kernelIfEEviiPT_lS3_lS3_S3_PiS2_S2_S2_.num_agpr, 0
	.set _ZN9rocsolver6v33100L30stedc_mergeValues_Solve_kernelIfEEviiPT_lS3_lS3_S3_PiS2_S2_S2_.numbered_sgpr, 37
	.set _ZN9rocsolver6v33100L30stedc_mergeValues_Solve_kernelIfEEviiPT_lS3_lS3_S3_PiS2_S2_S2_.num_named_barrier, 0
	.set _ZN9rocsolver6v33100L30stedc_mergeValues_Solve_kernelIfEEviiPT_lS3_lS3_S3_PiS2_S2_S2_.private_seg_size, 0
	.set _ZN9rocsolver6v33100L30stedc_mergeValues_Solve_kernelIfEEviiPT_lS3_lS3_S3_PiS2_S2_S2_.uses_vcc, 1
	.set _ZN9rocsolver6v33100L30stedc_mergeValues_Solve_kernelIfEEviiPT_lS3_lS3_S3_PiS2_S2_S2_.uses_flat_scratch, 0
	.set _ZN9rocsolver6v33100L30stedc_mergeValues_Solve_kernelIfEEviiPT_lS3_lS3_S3_PiS2_S2_S2_.has_dyn_sized_stack, 0
	.set _ZN9rocsolver6v33100L30stedc_mergeValues_Solve_kernelIfEEviiPT_lS3_lS3_S3_PiS2_S2_S2_.has_recursion, 0
	.set _ZN9rocsolver6v33100L30stedc_mergeValues_Solve_kernelIfEEviiPT_lS3_lS3_S3_PiS2_S2_S2_.has_indirect_call, 0
	.section	.AMDGPU.csdata,"",@progbits
; Kernel info:
; codeLenInByte = 11096
; TotalNumSgprs: 41
; NumVgprs: 52
; ScratchSize: 0
; MemoryBound: 0
; FloatMode: 240
; IeeeMode: 1
; LDSByteSize: 0 bytes/workgroup (compile time only)
; SGPRBlocks: 5
; VGPRBlocks: 12
; NumSGPRsForWavesPerEU: 41
; NumVGPRsForWavesPerEU: 52
; Occupancy: 4
; WaveLimiterHint : 1
; COMPUTE_PGM_RSRC2:SCRATCH_EN: 0
; COMPUTE_PGM_RSRC2:USER_SGPR: 6
; COMPUTE_PGM_RSRC2:TRAP_HANDLER: 0
; COMPUTE_PGM_RSRC2:TGID_X_EN: 1
; COMPUTE_PGM_RSRC2:TGID_Y_EN: 1
; COMPUTE_PGM_RSRC2:TGID_Z_EN: 0
; COMPUTE_PGM_RSRC2:TIDIG_COMP_CNT: 0
	.section	.text._ZN9rocsolver6v33100L32stedc_mergeValues_Rescale_kernelIfEEviiPT_lS3_lS3_S3_PiS2_S2_S2_,"axG",@progbits,_ZN9rocsolver6v33100L32stedc_mergeValues_Rescale_kernelIfEEviiPT_lS3_lS3_S3_PiS2_S2_S2_,comdat
	.globl	_ZN9rocsolver6v33100L32stedc_mergeValues_Rescale_kernelIfEEviiPT_lS3_lS3_S3_PiS2_S2_S2_ ; -- Begin function _ZN9rocsolver6v33100L32stedc_mergeValues_Rescale_kernelIfEEviiPT_lS3_lS3_S3_PiS2_S2_S2_
	.p2align	8
	.type	_ZN9rocsolver6v33100L32stedc_mergeValues_Rescale_kernelIfEEviiPT_lS3_lS3_S3_PiS2_S2_S2_,@function
_ZN9rocsolver6v33100L32stedc_mergeValues_Rescale_kernelIfEEviiPT_lS3_lS3_S3_PiS2_S2_S2_: ; @_ZN9rocsolver6v33100L32stedc_mergeValues_Rescale_kernelIfEEviiPT_lS3_lS3_S3_PiS2_S2_S2_
; %bb.0:
	s_load_dword s12, s[4:5], 0x4
	s_load_dwordx2 s[2:3], s[4:5], 0x38
	s_mov_b32 s0, s7
	s_waitcnt lgkmcnt(0)
	s_mul_i32 s16, s12, s7
	s_mul_i32 s8, s16, 13
	s_ashr_i32 s9, s8, 31
	s_ashr_i32 s13, s12, 31
	s_lshl_b64 s[8:9], s[8:9], 2
	s_add_u32 s1, s2, s8
	s_mul_i32 s2, s12, 6
	s_addc_u32 s7, s3, s9
	s_ashr_i32 s3, s2, 31
	s_lshl_b64 s[2:3], s[2:3], 2
	s_add_u32 s1, s1, s2
	s_addc_u32 s9, s7, s3
	s_lshl_b64 s[2:3], s[12:13], 2
	s_add_u32 s10, s1, s2
	s_addc_u32 s11, s9, s3
	s_ashr_i32 s7, s6, 31
	s_lshl_b64 s[2:3], s[6:7], 2
	s_add_u32 s8, s1, s2
	s_addc_u32 s9, s9, s3
	s_add_u32 s10, s10, s2
	s_addc_u32 s11, s11, s3
	s_load_dword s13, s[8:9], 0x0
	s_load_dword s17, s[10:11], 0x0
	s_waitcnt lgkmcnt(0)
	s_sub_i32 s1, s6, s13
	s_cmp_ge_i32 s1, s17
	s_cbranch_scc1 .LBB22_17
; %bb.1:
	s_load_dwordx4 s[8:11], s[4:5], 0x28
	v_cmp_le_i32_e32 vcc, s17, v0
                                        ; implicit-def: $sgpr1
	s_and_saveexec_b64 s[14:15], vcc
	s_xor_b64 s[14:15], exec, s[14:15]
; %bb.2:
	s_load_dword s1, s[4:5], 0x5c
; %bb.3:
	s_or_saveexec_b64 s[14:15], s[14:15]
	v_mov_b32_e32 v3, 1.0
	s_waitcnt lgkmcnt(0)
	v_mov_b32_e32 v2, s1
	s_xor_b64 exec, exec, s[14:15]
	s_cbranch_execz .LBB22_9
; %bb.4:
	s_load_dwordx4 s[20:23], s[4:5], 0x8
	s_load_dword s18, s[4:5], 0x5c
	s_ashr_i32 s1, s0, 31
	v_add_u32_e32 v1, s13, v0
	v_mul_lo_u32 v1, s12, v1
	s_waitcnt lgkmcnt(0)
	s_mul_hi_u32 s4, s22, s0
	s_mul_i32 s1, s22, s1
	s_mul_i32 s5, s23, s0
	s_add_i32 s1, s4, s1
	s_add_i32 s1, s1, s5
	s_mul_i32 s0, s22, s0
	s_lshl_b64 s[0:1], s[0:1], 2
	s_add_u32 s19, s20, s0
	s_mul_i32 s0, s16, s12
	s_addc_u32 s20, s21, s1
	s_lshl_b32 s0, s0, 1
	s_ashr_i32 s1, s0, 31
	s_lshl_b64 s[0:1], s[0:1], 2
	s_add_u32 s4, s10, s0
	s_addc_u32 s5, s11, s1
	s_mul_i32 s0, s12, s12
	s_mov_b32 s1, 0
	s_lshl_b64 s[0:1], s[0:1], 2
	s_add_u32 s10, s4, s0
	s_addc_u32 s7, s5, s1
	s_add_u32 s0, s19, s2
	s_addc_u32 s1, s20, s3
	s_and_b32 s11, s18, 0xffff
	v_add_u32_e32 v1, s6, v1
	s_sub_i32 s21, s13, s6
	v_subrev_u32_e32 v1, s13, v1
	s_mul_i32 s22, s12, s11
	v_mov_b32_e32 v3, 1.0
	s_mov_b64 s[4:5], 0
	v_mov_b32_e32 v4, s7
	v_mov_b32_e32 v5, v0
	s_branch .LBB22_6
.LBB22_5:                               ;   in Loop: Header=BB22_6 Depth=1
	s_or_b64 exec, exec, s[6:7]
	v_add_u32_e32 v5, s11, v5
	v_cmp_le_i32_e32 vcc, s17, v5
	s_waitcnt vmcnt(0)
	v_mul_f32_e32 v3, v3, v2
	s_or_b64 s[4:5], vcc, s[4:5]
	v_add_u32_e32 v1, s22, v1
	s_andn2_b64 exec, exec, s[4:5]
	s_cbranch_execz .LBB22_8
.LBB22_6:                               ; =>This Inner Loop Header: Depth=1
	v_ashrrev_i32_e32 v2, 31, v1
	v_lshlrev_b64 v[6:7], 2, v[1:2]
	v_add_co_u32_e32 v6, vcc, s10, v6
	v_addc_co_u32_e32 v7, vcc, v4, v7, vcc
	global_load_dword v2, v[6:7], off
	v_add_u32_e32 v6, s21, v5
	v_cmp_ne_u32_e32 vcc, 0, v6
	s_and_saveexec_b64 s[6:7], vcc
	s_cbranch_execz .LBB22_5
; %bb.7:                                ;   in Loop: Header=BB22_6 Depth=1
	v_add_u32_e32 v6, s13, v5
	v_ashrrev_i32_e32 v7, 31, v6
	v_lshlrev_b64 v[6:7], 2, v[6:7]
	v_mov_b32_e32 v8, s20
	v_add_co_u32_e32 v6, vcc, s19, v6
	v_addc_co_u32_e32 v7, vcc, v8, v7, vcc
	global_load_dword v6, v[6:7], off
	s_load_dword s23, s[0:1], 0x0
	s_waitcnt vmcnt(0) lgkmcnt(0)
	v_sub_f32_e32 v6, s23, v6
	v_div_scale_f32 v7, s[24:25], v6, v6, v2
	v_div_scale_f32 v8, vcc, v2, v6, v2
	v_rcp_f32_e32 v9, v7
	v_fma_f32 v10, -v7, v9, 1.0
	v_fmac_f32_e32 v9, v10, v9
	v_mul_f32_e32 v10, v8, v9
	v_fma_f32 v11, -v7, v10, v8
	v_fmac_f32_e32 v10, v11, v9
	v_fma_f32 v7, -v7, v10, v8
	v_div_fmas_f32 v7, v7, v9, v10
	v_div_fixup_f32 v2, v7, v6, v2
	s_branch .LBB22_5
.LBB22_8:
	s_or_b64 exec, exec, s[4:5]
	v_mov_b32_e32 v2, s18
.LBB22_9:
	s_or_b64 exec, exec, s[14:15]
	v_lshlrev_b32_e32 v1, 2, v0
	v_cmp_lt_u16_e32 vcc, 1, v2
	ds_write_b32 v1, v3
	s_waitcnt lgkmcnt(0)
	s_barrier
	s_and_saveexec_b64 s[0:1], vcc
	s_cbranch_execz .LBB22_15
; %bb.10:
	v_lshrrev_b16_e32 v2, 1, v2
	s_mov_b64 s[4:5], 0
	s_branch .LBB22_12
.LBB22_11:                              ;   in Loop: Header=BB22_12 Depth=1
	s_or_b64 exec, exec, s[6:7]
	v_lshrrev_b32_e32 v4, 1, v2
	v_cmp_gt_u32_e32 vcc, 2, v2
	s_or_b64 s[4:5], vcc, s[4:5]
	v_mov_b32_e32 v2, v4
	s_waitcnt lgkmcnt(0)
	s_barrier
	s_andn2_b64 exec, exec, s[4:5]
	s_cbranch_execz .LBB22_14
.LBB22_12:                              ; =>This Inner Loop Header: Depth=1
	v_cmp_lt_u32_e32 vcc, v0, v2
	s_and_saveexec_b64 s[6:7], vcc
	s_cbranch_execz .LBB22_11
; %bb.13:                               ;   in Loop: Header=BB22_12 Depth=1
	v_lshl_add_u32 v4, v2, 2, v1
	ds_read_b32 v4, v4
	s_waitcnt lgkmcnt(0)
	v_mul_f32_e32 v3, v3, v4
	ds_write_b32 v1, v3
	s_branch .LBB22_11
.LBB22_14:
	s_or_b64 exec, exec, s[4:5]
.LBB22_15:
	s_or_b64 exec, exec, s[0:1]
	v_cmp_eq_u32_e32 vcc, 0, v0
	s_and_saveexec_b64 s[0:1], vcc
	s_cbranch_execz .LBB22_17
; %bb.16:
	s_mov_b32 s6, 0xf800000
	s_mov_b32 s7, 0x4f800000
	s_mul_i32 s0, s16, 10
	v_mul_f32_e64 v0, |v3|, s7
	v_cmp_lt_f32_e64 vcc, |v3|, s6
	s_ashr_i32 s1, s0, 31
	v_cndmask_b32_e64 v0, |v3|, v0, vcc
	s_lshl_b64 s[0:1], s[0:1], 2
	v_sqrt_f32_e32 v1, v0
	s_add_u32 s4, s8, s0
	s_addc_u32 s5, s9, s1
	s_lshl_b32 s0, s12, 3
	s_ashr_i32 s1, s0, 31
	s_lshl_b64 s[0:1], s[0:1], 2
	v_add_u32_e32 v2, -1, v1
	s_add_u32 s4, s4, s0
	v_fma_f32 v3, -v2, v1, v0
	s_addc_u32 s5, s5, s1
	v_cmp_ge_f32_e64 s[0:1], 0, v3
	v_add_u32_e32 v3, 1, v1
	v_cndmask_b32_e64 v2, v1, v2, s[0:1]
	v_fma_f32 v1, -v3, v1, v0
	v_cmp_lt_f32_e64 s[0:1], 0, v1
	v_cndmask_b32_e64 v1, v2, v3, s[0:1]
	s_add_u32 s0, s4, s2
	s_addc_u32 s1, s5, s3
	s_load_dword s2, s[0:1], 0x0
	v_mul_f32_e32 v2, 0x37800000, v1
	v_cndmask_b32_e32 v1, v1, v2, vcc
	v_mov_b32_e32 v2, 0x260
	v_cmp_class_f32_e32 vcc, v0, v2
	v_cndmask_b32_e32 v0, v1, v0, vcc
	s_waitcnt lgkmcnt(0)
	v_cmp_lt_f32_e64 s[2:3], s2, 0
	v_mov_b32_e32 v1, 0
	v_cndmask_b32_e64 v0, v0, -v0, s[2:3]
	global_store_dword v1, v0, s[0:1]
.LBB22_17:
	s_endpgm
	.section	.rodata,"a",@progbits
	.p2align	6, 0x0
	.amdhsa_kernel _ZN9rocsolver6v33100L32stedc_mergeValues_Rescale_kernelIfEEviiPT_lS3_lS3_S3_PiS2_S2_S2_
		.amdhsa_group_segment_fixed_size 2048
		.amdhsa_private_segment_fixed_size 0
		.amdhsa_kernarg_size 336
		.amdhsa_user_sgpr_count 6
		.amdhsa_user_sgpr_private_segment_buffer 1
		.amdhsa_user_sgpr_dispatch_ptr 0
		.amdhsa_user_sgpr_queue_ptr 0
		.amdhsa_user_sgpr_kernarg_segment_ptr 1
		.amdhsa_user_sgpr_dispatch_id 0
		.amdhsa_user_sgpr_flat_scratch_init 0
		.amdhsa_user_sgpr_private_segment_size 0
		.amdhsa_uses_dynamic_stack 0
		.amdhsa_system_sgpr_private_segment_wavefront_offset 0
		.amdhsa_system_sgpr_workgroup_id_x 1
		.amdhsa_system_sgpr_workgroup_id_y 1
		.amdhsa_system_sgpr_workgroup_id_z 0
		.amdhsa_system_sgpr_workgroup_info 0
		.amdhsa_system_vgpr_workitem_id 0
		.amdhsa_next_free_vgpr 12
		.amdhsa_next_free_sgpr 26
		.amdhsa_reserve_vcc 1
		.amdhsa_reserve_flat_scratch 0
		.amdhsa_float_round_mode_32 0
		.amdhsa_float_round_mode_16_64 0
		.amdhsa_float_denorm_mode_32 3
		.amdhsa_float_denorm_mode_16_64 3
		.amdhsa_dx10_clamp 1
		.amdhsa_ieee_mode 1
		.amdhsa_fp16_overflow 0
		.amdhsa_exception_fp_ieee_invalid_op 0
		.amdhsa_exception_fp_denorm_src 0
		.amdhsa_exception_fp_ieee_div_zero 0
		.amdhsa_exception_fp_ieee_overflow 0
		.amdhsa_exception_fp_ieee_underflow 0
		.amdhsa_exception_fp_ieee_inexact 0
		.amdhsa_exception_int_div_zero 0
	.end_amdhsa_kernel
	.section	.text._ZN9rocsolver6v33100L32stedc_mergeValues_Rescale_kernelIfEEviiPT_lS3_lS3_S3_PiS2_S2_S2_,"axG",@progbits,_ZN9rocsolver6v33100L32stedc_mergeValues_Rescale_kernelIfEEviiPT_lS3_lS3_S3_PiS2_S2_S2_,comdat
.Lfunc_end22:
	.size	_ZN9rocsolver6v33100L32stedc_mergeValues_Rescale_kernelIfEEviiPT_lS3_lS3_S3_PiS2_S2_S2_, .Lfunc_end22-_ZN9rocsolver6v33100L32stedc_mergeValues_Rescale_kernelIfEEviiPT_lS3_lS3_S3_PiS2_S2_S2_
                                        ; -- End function
	.set _ZN9rocsolver6v33100L32stedc_mergeValues_Rescale_kernelIfEEviiPT_lS3_lS3_S3_PiS2_S2_S2_.num_vgpr, 12
	.set _ZN9rocsolver6v33100L32stedc_mergeValues_Rescale_kernelIfEEviiPT_lS3_lS3_S3_PiS2_S2_S2_.num_agpr, 0
	.set _ZN9rocsolver6v33100L32stedc_mergeValues_Rescale_kernelIfEEviiPT_lS3_lS3_S3_PiS2_S2_S2_.numbered_sgpr, 26
	.set _ZN9rocsolver6v33100L32stedc_mergeValues_Rescale_kernelIfEEviiPT_lS3_lS3_S3_PiS2_S2_S2_.num_named_barrier, 0
	.set _ZN9rocsolver6v33100L32stedc_mergeValues_Rescale_kernelIfEEviiPT_lS3_lS3_S3_PiS2_S2_S2_.private_seg_size, 0
	.set _ZN9rocsolver6v33100L32stedc_mergeValues_Rescale_kernelIfEEviiPT_lS3_lS3_S3_PiS2_S2_S2_.uses_vcc, 1
	.set _ZN9rocsolver6v33100L32stedc_mergeValues_Rescale_kernelIfEEviiPT_lS3_lS3_S3_PiS2_S2_S2_.uses_flat_scratch, 0
	.set _ZN9rocsolver6v33100L32stedc_mergeValues_Rescale_kernelIfEEviiPT_lS3_lS3_S3_PiS2_S2_S2_.has_dyn_sized_stack, 0
	.set _ZN9rocsolver6v33100L32stedc_mergeValues_Rescale_kernelIfEEviiPT_lS3_lS3_S3_PiS2_S2_S2_.has_recursion, 0
	.set _ZN9rocsolver6v33100L32stedc_mergeValues_Rescale_kernelIfEEviiPT_lS3_lS3_S3_PiS2_S2_S2_.has_indirect_call, 0
	.section	.AMDGPU.csdata,"",@progbits
; Kernel info:
; codeLenInByte = 948
; TotalNumSgprs: 30
; NumVgprs: 12
; ScratchSize: 0
; MemoryBound: 0
; FloatMode: 240
; IeeeMode: 1
; LDSByteSize: 2048 bytes/workgroup (compile time only)
; SGPRBlocks: 3
; VGPRBlocks: 2
; NumSGPRsForWavesPerEU: 30
; NumVGPRsForWavesPerEU: 12
; Occupancy: 10
; WaveLimiterHint : 1
; COMPUTE_PGM_RSRC2:SCRATCH_EN: 0
; COMPUTE_PGM_RSRC2:USER_SGPR: 6
; COMPUTE_PGM_RSRC2:TRAP_HANDLER: 0
; COMPUTE_PGM_RSRC2:TGID_X_EN: 1
; COMPUTE_PGM_RSRC2:TGID_Y_EN: 1
; COMPUTE_PGM_RSRC2:TGID_Z_EN: 0
; COMPUTE_PGM_RSRC2:TIDIG_COMP_CNT: 0
	.section	.text._ZN9rocsolver6v33100L25stedc_mergeVectors_kernelILb1EfEEviiPT0_iilS3_S3_Pi,"axG",@progbits,_ZN9rocsolver6v33100L25stedc_mergeVectors_kernelILb1EfEEviiPT0_iilS3_S3_Pi,comdat
	.globl	_ZN9rocsolver6v33100L25stedc_mergeVectors_kernelILb1EfEEviiPT0_iilS3_S3_Pi ; -- Begin function _ZN9rocsolver6v33100L25stedc_mergeVectors_kernelILb1EfEEviiPT0_iilS3_S3_Pi
	.p2align	8
	.type	_ZN9rocsolver6v33100L25stedc_mergeVectors_kernelILb1EfEEviiPT0_iilS3_S3_Pi,@function
_ZN9rocsolver6v33100L25stedc_mergeVectors_kernelILb1EfEEviiPT0_iilS3_S3_Pi: ; @_ZN9rocsolver6v33100L25stedc_mergeVectors_kernelILb1EfEEviiPT0_iilS3_S3_Pi
; %bb.0:
	s_load_dword s8, s[4:5], 0x4
	s_load_dword s12, s[4:5], 0x44
	s_load_dwordx2 s[10:11], s[4:5], 0x30
	s_load_dwordx4 s[0:3], s[4:5], 0x20
	s_waitcnt lgkmcnt(0)
	s_mul_i32 s16, s8, s7
	s_mul_i32 s4, s16, 13
	s_ashr_i32 s5, s4, 31
	s_ashr_i32 s9, s8, 31
	s_and_b32 s20, s12, 0xffff
	s_lshl_b64 s[4:5], s[4:5], 2
	s_add_u32 s7, s10, s4
	s_mul_i32 s4, s8, 5
	s_addc_u32 s10, s11, s5
	s_ashr_i32 s5, s4, 31
	s_lshl_b64 s[4:5], s[4:5], 2
	s_add_u32 s17, s7, s4
	s_addc_u32 s19, s10, s5
	s_lshl_b64 s[4:5], s[8:9], 2
	s_add_u32 s9, s17, s4
	s_addc_u32 s15, s19, s5
	s_add_u32 s21, s9, s4
	s_mul_i32 s4, s16, s8
	s_addc_u32 s22, s15, s5
	s_lshl_b32 s4, s4, 1
	s_ashr_i32 s7, s6, 31
	s_ashr_i32 s5, s4, 31
	s_lshl_b64 s[12:13], s[6:7], 2
	s_add_u32 s14, s9, s12
	s_addc_u32 s15, s15, s13
	s_add_u32 s18, s17, s12
	s_addc_u32 s19, s19, s13
	;; [unrolled: 2-line block ×3, first 2 shown]
	s_load_dword s9, s[14:15], 0x0
	s_load_dword s7, s[18:19], 0x0
	;; [unrolled: 1-line block ×3, first 2 shown]
	s_mul_i32 s10, s8, s8
	s_mov_b32 s11, 0
	s_waitcnt lgkmcnt(0)
	s_sub_i32 s12, s6, s9
	s_cmp_ge_i32 s12, s21
	s_cselect_b64 s[12:13], -1, 0
	s_and_b64 vcc, exec, s[12:13]
	s_barrier
	s_cbranch_vccnz .LBB23_10
; %bb.1:
	v_cmp_gt_i32_e32 vcc, s21, v0
	v_mov_b32_e32 v1, 0
	s_and_saveexec_b64 s[14:15], vcc
	s_cbranch_execz .LBB23_5
; %bb.2:
	s_mul_i32 s24, s8, s6
	v_add_u32_e32 v1, s24, v0
	v_ashrrev_i32_e32 v2, 31, v1
	v_lshlrev_b64 v[1:2], 2, v[1:2]
	s_mul_i32 s16, s16, 10
	s_lshl_b32 s18, s8, 3
	s_lshl_b64 s[22:23], s[4:5], 2
	s_ashr_i32 s17, s16, 31
	s_ashr_i32 s19, s18, 31
	v_mov_b32_e32 v3, s23
	v_add_co_u32_e32 v1, vcc, s22, v1
	s_lshl_b64 s[22:23], s[10:11], 2
	s_add_u32 s22, s2, s22
	v_addc_co_u32_e32 v5, vcc, v3, v2, vcc
	s_addc_u32 s23, s3, s23
	v_mov_b32_e32 v3, s23
	v_add_co_u32_e32 v2, vcc, s22, v1
	v_addc_co_u32_e32 v3, vcc, v3, v5, vcc
	s_lshl_b32 s22, s20, 2
	v_mov_b32_e32 v6, s3
	v_add_co_u32_e32 v4, vcc, s2, v1
	s_lshl_b64 s[16:17], s[16:17], 2
	s_lshl_b64 s[18:19], s[18:19], 2
	v_addc_co_u32_e32 v5, vcc, v6, v5, vcc
	s_add_u32 s16, s16, s18
	v_add_u32_e32 v6, s9, v0
	s_addc_u32 s17, s17, s19
	v_ashrrev_i32_e32 v7, 31, v6
	v_lshlrev_b64 v[6:7], 2, v[6:7]
	s_add_u32 s0, s0, s16
	s_addc_u32 s1, s1, s17
	v_mov_b32_e32 v1, s1
	v_add_co_u32_e32 v6, vcc, s0, v6
	v_addc_co_u32_e32 v7, vcc, v1, v7, vcc
	v_mov_b32_e32 v1, 0
	s_mov_b64 s[16:17], 0
	s_mov_b64 s[18:19], 0
	v_mov_b32_e32 v8, v0
.LBB23_3:                               ; =>This Inner Loop Header: Depth=1
	v_mov_b32_e32 v13, s19
	v_add_co_u32_e64 v11, s[0:1], s18, v6
	v_add_co_u32_e32 v9, vcc, s18, v2
	v_addc_co_u32_e64 v12, s[0:1], v7, v13, s[0:1]
	v_addc_co_u32_e32 v10, vcc, v3, v13, vcc
	global_load_dword v14, v[11:12], off
	global_load_dword v15, v[9:10], off
	v_add_u32_e32 v8, s20, v8
	s_waitcnt vmcnt(0)
	v_div_scale_f32 v9, s[0:1], v15, v15, v14
	v_div_scale_f32 v10, vcc, v14, v15, v14
	v_rcp_f32_e32 v11, v9
	v_fma_f32 v12, -v9, v11, 1.0
	v_fmac_f32_e32 v11, v12, v11
	v_mul_f32_e32 v12, v10, v11
	v_fma_f32 v16, -v9, v12, v10
	v_fmac_f32_e32 v12, v16, v11
	v_fma_f32 v9, -v9, v12, v10
	v_div_fmas_f32 v11, v9, v11, v12
	v_add_co_u32_e32 v9, vcc, s18, v4
	s_add_u32 s18, s18, s22
	v_addc_co_u32_e32 v10, vcc, v5, v13, vcc
	s_addc_u32 s19, s19, 0
	v_cmp_le_i32_e32 vcc, s21, v8
	s_or_b64 s[16:17], vcc, s[16:17]
	v_div_fixup_f32 v11, v11, v15, v14
	v_fmac_f32_e32 v1, v11, v11
	global_store_dword v[9:10], v11, off
	s_andn2_b64 exec, exec, s[16:17]
	s_cbranch_execnz .LBB23_3
; %bb.4:
	s_or_b64 exec, exec, s[16:17]
.LBB23_5:
	s_or_b64 exec, exec, s[14:15]
	v_lshlrev_b32_e32 v2, 2, v0
	s_cmp_lt_u32 s20, 2
	ds_write_b32 v2, v1
	s_cbranch_scc1 .LBB23_11
; %bb.6:
	s_mov_b32 s14, s20
	s_branch .LBB23_8
.LBB23_7:                               ;   in Loop: Header=BB23_8 Depth=1
	s_or_b64 exec, exec, s[0:1]
	s_cmp_lt_u32 s14, 4
	s_mov_b32 s14, s15
	s_cbranch_scc1 .LBB23_11
.LBB23_8:                               ; =>This Inner Loop Header: Depth=1
	s_lshr_b32 s15, s14, 1
	v_cmp_gt_u32_e32 vcc, s15, v0
	s_waitcnt vmcnt(0) lgkmcnt(0)
	s_barrier
	s_and_saveexec_b64 s[0:1], vcc
	s_cbranch_execz .LBB23_7
; %bb.9:                                ;   in Loop: Header=BB23_8 Depth=1
	v_lshl_add_u32 v3, s15, 2, v2
	ds_read_b32 v3, v3
	s_waitcnt lgkmcnt(0)
	v_add_f32_e32 v1, v1, v3
	ds_write_b32 v2, v1
	s_branch .LBB23_7
.LBB23_10:
                                        ; implicit-def: $vgpr1
	s_add_i32 s14, s7, s9
	v_cmp_gt_i32_e32 vcc, s14, v0
	s_and_saveexec_b64 s[0:1], vcc
	s_cbranch_execnz .LBB23_12
	s_branch .LBB23_18
.LBB23_11:
	v_mov_b32_e32 v1, 0
	s_waitcnt vmcnt(0) lgkmcnt(0)
	s_barrier
	ds_read_b32 v1, v1
	s_mov_b32 s0, 0xf800000
	s_waitcnt lgkmcnt(0)
	v_mul_f32_e32 v2, 0x4f800000, v1
	v_cmp_gt_f32_e32 vcc, s0, v1
	v_cndmask_b32_e32 v1, v1, v2, vcc
	v_sqrt_f32_e32 v2, v1
	v_add_u32_e32 v3, -1, v2
	v_fma_f32 v5, -v3, v2, v1
	v_add_u32_e32 v4, 1, v2
	v_cmp_ge_f32_e64 s[0:1], 0, v5
	v_cndmask_b32_e64 v3, v2, v3, s[0:1]
	v_fma_f32 v2, -v4, v2, v1
	v_cmp_lt_f32_e64 s[0:1], 0, v2
	v_cndmask_b32_e64 v2, v3, v4, s[0:1]
	v_mul_f32_e32 v3, 0x37800000, v2
	v_cndmask_b32_e32 v2, v2, v3, vcc
	v_mov_b32_e32 v3, 0x260
	v_cmp_class_f32_e32 vcc, v1, v3
	v_cndmask_b32_e32 v1, v2, v1, vcc
	s_add_i32 s14, s7, s9
	v_cmp_gt_i32_e32 vcc, s14, v0
	s_and_saveexec_b64 s[0:1], vcc
	s_cbranch_execz .LBB23_18
.LBB23_12:
	s_lshl_b64 s[0:1], s[4:5], 2
	s_add_u32 s15, s2, s0
	s_addc_u32 s16, s3, s1
	s_lshl_b64 s[0:1], s[10:11], 2
	s_add_u32 s10, s15, s0
	s_addc_u32 s4, s16, s1
	s_mul_i32 s8, s8, s6
	s_sub_i32 s11, 0, s9
	s_sub_i32 s17, s8, s9
	s_mov_b64 s[0:1], 0
	s_xor_b64 s[2:3], s[12:13], -1
	v_mov_b32_e32 v2, s4
	s_branch .LBB23_15
.LBB23_13:                              ;   in Loop: Header=BB23_15 Depth=1
	s_or_b64 exec, exec, s[6:7]
.LBB23_14:                              ;   in Loop: Header=BB23_15 Depth=1
	s_or_b64 exec, exec, s[4:5]
	v_add_u32_e32 v4, s8, v0
	v_ashrrev_i32_e32 v5, 31, v4
	v_lshlrev_b64 v[4:5], 2, v[4:5]
	v_add_u32_e32 v0, s20, v0
	v_add_co_u32_e32 v4, vcc, s10, v4
	v_addc_co_u32_e32 v5, vcc, v2, v5, vcc
	v_cmp_le_i32_e32 vcc, s14, v0
	s_or_b64 s[0:1], vcc, s[0:1]
	global_store_dword v[4:5], v3, off
	s_andn2_b64 exec, exec, s[0:1]
	s_cbranch_execz .LBB23_18
.LBB23_15:                              ; =>This Inner Loop Header: Depth=1
	v_cmp_le_i32_e32 vcc, s9, v0
	s_and_b64 s[6:7], s[2:3], vcc
	v_mov_b32_e32 v3, 0
	s_and_saveexec_b64 s[4:5], s[6:7]
	s_cbranch_execz .LBB23_14
; %bb.16:                               ;   in Loop: Header=BB23_15 Depth=1
	v_add_u32_e32 v3, s11, v0
	v_cmp_gt_i32_e32 vcc, s21, v3
	v_mov_b32_e32 v3, 0
	s_and_saveexec_b64 s[6:7], vcc
	s_cbranch_execz .LBB23_13
; %bb.17:                               ;   in Loop: Header=BB23_15 Depth=1
	v_add_u32_e32 v3, s17, v0
	v_ashrrev_i32_e32 v4, 31, v3
	v_lshlrev_b64 v[3:4], 2, v[3:4]
	v_mov_b32_e32 v5, s16
	v_add_co_u32_e32 v3, vcc, s15, v3
	v_addc_co_u32_e32 v4, vcc, v5, v4, vcc
	global_load_dword v3, v[3:4], off
	s_waitcnt vmcnt(0)
	v_div_scale_f32 v4, s[12:13], v1, v1, v3
	v_div_scale_f32 v5, vcc, v3, v1, v3
	v_rcp_f32_e32 v6, v4
	v_fma_f32 v7, -v4, v6, 1.0
	v_fmac_f32_e32 v6, v7, v6
	v_mul_f32_e32 v7, v5, v6
	v_fma_f32 v8, -v4, v7, v5
	v_fmac_f32_e32 v7, v8, v6
	v_fma_f32 v4, -v4, v7, v5
	v_div_fmas_f32 v4, v4, v6, v7
	v_div_fixup_f32 v3, v4, v1, v3
	s_branch .LBB23_13
.LBB23_18:
	s_endpgm
	.section	.rodata,"a",@progbits
	.p2align	6, 0x0
	.amdhsa_kernel _ZN9rocsolver6v33100L25stedc_mergeVectors_kernelILb1EfEEviiPT0_iilS3_S3_Pi
		.amdhsa_group_segment_fixed_size 2048
		.amdhsa_private_segment_fixed_size 0
		.amdhsa_kernarg_size 312
		.amdhsa_user_sgpr_count 6
		.amdhsa_user_sgpr_private_segment_buffer 1
		.amdhsa_user_sgpr_dispatch_ptr 0
		.amdhsa_user_sgpr_queue_ptr 0
		.amdhsa_user_sgpr_kernarg_segment_ptr 1
		.amdhsa_user_sgpr_dispatch_id 0
		.amdhsa_user_sgpr_flat_scratch_init 0
		.amdhsa_user_sgpr_private_segment_size 0
		.amdhsa_uses_dynamic_stack 0
		.amdhsa_system_sgpr_private_segment_wavefront_offset 0
		.amdhsa_system_sgpr_workgroup_id_x 1
		.amdhsa_system_sgpr_workgroup_id_y 1
		.amdhsa_system_sgpr_workgroup_id_z 0
		.amdhsa_system_sgpr_workgroup_info 0
		.amdhsa_system_vgpr_workitem_id 0
		.amdhsa_next_free_vgpr 17
		.amdhsa_next_free_sgpr 25
		.amdhsa_reserve_vcc 1
		.amdhsa_reserve_flat_scratch 0
		.amdhsa_float_round_mode_32 0
		.amdhsa_float_round_mode_16_64 0
		.amdhsa_float_denorm_mode_32 3
		.amdhsa_float_denorm_mode_16_64 3
		.amdhsa_dx10_clamp 1
		.amdhsa_ieee_mode 1
		.amdhsa_fp16_overflow 0
		.amdhsa_exception_fp_ieee_invalid_op 0
		.amdhsa_exception_fp_denorm_src 0
		.amdhsa_exception_fp_ieee_div_zero 0
		.amdhsa_exception_fp_ieee_overflow 0
		.amdhsa_exception_fp_ieee_underflow 0
		.amdhsa_exception_fp_ieee_inexact 0
		.amdhsa_exception_int_div_zero 0
	.end_amdhsa_kernel
	.section	.text._ZN9rocsolver6v33100L25stedc_mergeVectors_kernelILb1EfEEviiPT0_iilS3_S3_Pi,"axG",@progbits,_ZN9rocsolver6v33100L25stedc_mergeVectors_kernelILb1EfEEviiPT0_iilS3_S3_Pi,comdat
.Lfunc_end23:
	.size	_ZN9rocsolver6v33100L25stedc_mergeVectors_kernelILb1EfEEviiPT0_iilS3_S3_Pi, .Lfunc_end23-_ZN9rocsolver6v33100L25stedc_mergeVectors_kernelILb1EfEEviiPT0_iilS3_S3_Pi
                                        ; -- End function
	.set _ZN9rocsolver6v33100L25stedc_mergeVectors_kernelILb1EfEEviiPT0_iilS3_S3_Pi.num_vgpr, 17
	.set _ZN9rocsolver6v33100L25stedc_mergeVectors_kernelILb1EfEEviiPT0_iilS3_S3_Pi.num_agpr, 0
	.set _ZN9rocsolver6v33100L25stedc_mergeVectors_kernelILb1EfEEviiPT0_iilS3_S3_Pi.numbered_sgpr, 25
	.set _ZN9rocsolver6v33100L25stedc_mergeVectors_kernelILb1EfEEviiPT0_iilS3_S3_Pi.num_named_barrier, 0
	.set _ZN9rocsolver6v33100L25stedc_mergeVectors_kernelILb1EfEEviiPT0_iilS3_S3_Pi.private_seg_size, 0
	.set _ZN9rocsolver6v33100L25stedc_mergeVectors_kernelILb1EfEEviiPT0_iilS3_S3_Pi.uses_vcc, 1
	.set _ZN9rocsolver6v33100L25stedc_mergeVectors_kernelILb1EfEEviiPT0_iilS3_S3_Pi.uses_flat_scratch, 0
	.set _ZN9rocsolver6v33100L25stedc_mergeVectors_kernelILb1EfEEviiPT0_iilS3_S3_Pi.has_dyn_sized_stack, 0
	.set _ZN9rocsolver6v33100L25stedc_mergeVectors_kernelILb1EfEEviiPT0_iilS3_S3_Pi.has_recursion, 0
	.set _ZN9rocsolver6v33100L25stedc_mergeVectors_kernelILb1EfEEviiPT0_iilS3_S3_Pi.has_indirect_call, 0
	.section	.AMDGPU.csdata,"",@progbits
; Kernel info:
; codeLenInByte = 1116
; TotalNumSgprs: 29
; NumVgprs: 17
; ScratchSize: 0
; MemoryBound: 0
; FloatMode: 240
; IeeeMode: 1
; LDSByteSize: 2048 bytes/workgroup (compile time only)
; SGPRBlocks: 3
; VGPRBlocks: 4
; NumSGPRsForWavesPerEU: 29
; NumVGPRsForWavesPerEU: 17
; Occupancy: 10
; WaveLimiterHint : 1
; COMPUTE_PGM_RSRC2:SCRATCH_EN: 0
; COMPUTE_PGM_RSRC2:USER_SGPR: 6
; COMPUTE_PGM_RSRC2:TRAP_HANDLER: 0
; COMPUTE_PGM_RSRC2:TGID_X_EN: 1
; COMPUTE_PGM_RSRC2:TGID_Y_EN: 1
; COMPUTE_PGM_RSRC2:TGID_Z_EN: 0
; COMPUTE_PGM_RSRC2:TIDIG_COMP_CNT: 0
	.section	.text._ZN9rocsolver6v33100L24stedc_mergeUpdate_kernelIfEEviiPT_lS3_iilS3_S3_Pi,"axG",@progbits,_ZN9rocsolver6v33100L24stedc_mergeUpdate_kernelIfEEviiPT_lS3_iilS3_S3_Pi,comdat
	.globl	_ZN9rocsolver6v33100L24stedc_mergeUpdate_kernelIfEEviiPT_lS3_iilS3_S3_Pi ; -- Begin function _ZN9rocsolver6v33100L24stedc_mergeUpdate_kernelIfEEviiPT_lS3_iilS3_S3_Pi
	.p2align	8
	.type	_ZN9rocsolver6v33100L24stedc_mergeUpdate_kernelIfEEviiPT_lS3_iilS3_S3_Pi,@function
_ZN9rocsolver6v33100L24stedc_mergeUpdate_kernelIfEEviiPT_lS3_iilS3_S3_Pi: ; @_ZN9rocsolver6v33100L24stedc_mergeUpdate_kernelIfEEviiPT_lS3_iilS3_S3_Pi
; %bb.0:
	s_load_dword s2, s[4:5], 0x4
	s_load_dwordx8 s[8:15], s[4:5], 0x28
	s_mov_b32 s0, s7
	s_waitcnt lgkmcnt(0)
	s_mul_i32 s1, s2, s7
	s_mul_i32 s16, s1, 13
	s_ashr_i32 s17, s16, 31
	s_lshl_b64 s[16:17], s[16:17], 2
	s_add_u32 s3, s14, s16
	s_mul_i32 s14, s2, 7
	s_addc_u32 s7, s15, s17
	s_ashr_i32 s15, s14, 31
	s_lshl_b64 s[14:15], s[14:15], 2
	s_add_u32 s16, s3, s14
	s_addc_u32 s17, s7, s15
	s_ashr_i32 s3, s2, 31
	s_lshl_b64 s[14:15], s[2:3], 3
	s_sub_u32 s7, 0, s14
	s_subb_u32 s14, 0, s15
	s_add_u32 s24, s16, s7
	s_addc_u32 s25, s17, s14
	s_lshl_b64 s[20:21], s[2:3], 2
	s_add_u32 s3, s24, s20
	s_addc_u32 s15, s25, s21
	s_ashr_i32 s7, s6, 31
	s_lshl_b64 s[22:23], s[6:7], 2
	s_add_u32 s14, s3, s22
	s_addc_u32 s15, s15, s23
	s_add_u32 s16, s16, s22
	s_addc_u32 s17, s17, s23
	s_load_dword s3, s[14:15], 0x0
	s_load_dword s7, s[16:17], 0x0
	s_waitcnt lgkmcnt(0)
	s_sub_i32 s14, s6, s3
	s_cmp_ge_i32 s14, s7
	s_cbranch_scc1 .LBB24_6
; %bb.1:
	s_ashr_i32 s7, s0, 31
	s_add_u32 s24, s24, s22
	s_addc_u32 s25, s25, s23
	s_load_dwordx4 s[16:19], s[4:5], 0x8
	s_load_dwordx2 s[14:15], s[4:5], 0x18
	s_load_dword s26, s[24:25], 0x0
	v_cmp_eq_u32_e32 vcc, 0, v0
	s_and_saveexec_b64 s[24:25], vcc
	s_cbranch_execz .LBB24_3
; %bb.2:
	s_waitcnt lgkmcnt(0)
	s_mul_i32 s27, s18, s7
	s_mul_hi_u32 s28, s18, s0
	s_add_i32 s27, s28, s27
	s_mul_i32 s19, s19, s0
	s_add_i32 s19, s27, s19
	s_mul_i32 s18, s18, s0
	s_lshl_b64 s[18:19], s[18:19], 2
	s_add_u32 s16, s16, s18
	s_addc_u32 s17, s17, s19
	s_add_u32 s16, s16, s22
	s_mul_i32 s18, s1, 10
	s_addc_u32 s17, s17, s23
	s_ashr_i32 s19, s18, 31
	s_lshl_b64 s[18:19], s[18:19], 2
	s_add_u32 s10, s10, s18
	s_addc_u32 s11, s11, s19
	s_add_u32 s10, s10, s20
	s_addc_u32 s11, s11, s21
	s_add_u32 s10, s10, s22
	s_addc_u32 s11, s11, s23
	s_load_dword s10, s[10:11], 0x0
	v_mov_b32_e32 v1, 0
	s_waitcnt lgkmcnt(0)
	v_mov_b32_e32 v2, s10
	global_store_dword v1, v2, s[16:17]
.LBB24_3:
	s_or_b64 exec, exec, s[24:25]
	v_add_u32_e32 v0, s3, v0
	s_waitcnt lgkmcnt(0)
	s_add_i32 s3, s26, s3
	v_cmp_gt_i32_e32 vcc, s3, v0
	s_and_saveexec_b64 s[10:11], vcc
	s_cbranch_execz .LBB24_6
; %bb.4:
	s_load_dwordx2 s[10:11], s[4:5], 0x20
	s_load_dword s17, s[4:5], 0x54
	s_mul_i32 s7, s8, s7
	s_mul_hi_u32 s16, s8, s0
	s_add_i32 s7, s16, s7
	s_mul_i32 s9, s9, s0
	s_add_i32 s9, s7, s9
	s_mul_i32 s8, s8, s0
	s_waitcnt lgkmcnt(0)
	s_ashr_i32 s5, s10, 31
	s_lshl_b64 s[8:9], s[8:9], 2
	s_mov_b32 s4, s10
	s_add_u32 s0, s14, s8
	s_addc_u32 s7, s15, s9
	s_lshl_b64 s[4:5], s[4:5], 2
	s_add_u32 s4, s0, s4
	s_mul_i32 s1, s1, s2
	s_addc_u32 s8, s7, s5
	s_lshl_b32 s0, s1, 1
	s_ashr_i32 s1, s0, 31
	s_lshl_b64 s[0:1], s[0:1], 2
	s_add_u32 s5, s12, s0
	s_addc_u32 s9, s13, s1
	s_mul_i32 s2, s2, s6
	s_mul_i32 s6, s11, s6
	s_and_b32 s7, s17, 0xffff
	s_mov_b64 s[0:1], 0
	v_mov_b32_e32 v1, s9
	v_mov_b32_e32 v2, s8
.LBB24_5:                               ; =>This Inner Loop Header: Depth=1
	v_add_u32_e32 v3, s2, v0
	v_ashrrev_i32_e32 v4, 31, v3
	v_lshlrev_b64 v[3:4], 2, v[3:4]
	v_add_co_u32_e32 v3, vcc, s5, v3
	v_addc_co_u32_e32 v4, vcc, v1, v4, vcc
	global_load_dword v5, v[3:4], off
	v_add_u32_e32 v3, s6, v0
	v_ashrrev_i32_e32 v4, 31, v3
	v_add_u32_e32 v0, s7, v0
	v_lshlrev_b64 v[3:4], 2, v[3:4]
	v_cmp_le_i32_e32 vcc, s3, v0
	s_or_b64 s[0:1], vcc, s[0:1]
	v_add_co_u32_e32 v3, vcc, s4, v3
	v_addc_co_u32_e32 v4, vcc, v2, v4, vcc
	s_waitcnt vmcnt(0)
	global_store_dword v[3:4], v5, off
	s_andn2_b64 exec, exec, s[0:1]
	s_cbranch_execnz .LBB24_5
.LBB24_6:
	s_endpgm
	.section	.rodata,"a",@progbits
	.p2align	6, 0x0
	.amdhsa_kernel _ZN9rocsolver6v33100L24stedc_mergeUpdate_kernelIfEEviiPT_lS3_iilS3_S3_Pi
		.amdhsa_group_segment_fixed_size 0
		.amdhsa_private_segment_fixed_size 0
		.amdhsa_kernarg_size 328
		.amdhsa_user_sgpr_count 6
		.amdhsa_user_sgpr_private_segment_buffer 1
		.amdhsa_user_sgpr_dispatch_ptr 0
		.amdhsa_user_sgpr_queue_ptr 0
		.amdhsa_user_sgpr_kernarg_segment_ptr 1
		.amdhsa_user_sgpr_dispatch_id 0
		.amdhsa_user_sgpr_flat_scratch_init 0
		.amdhsa_user_sgpr_private_segment_size 0
		.amdhsa_uses_dynamic_stack 0
		.amdhsa_system_sgpr_private_segment_wavefront_offset 0
		.amdhsa_system_sgpr_workgroup_id_x 1
		.amdhsa_system_sgpr_workgroup_id_y 1
		.amdhsa_system_sgpr_workgroup_id_z 0
		.amdhsa_system_sgpr_workgroup_info 0
		.amdhsa_system_vgpr_workitem_id 0
		.amdhsa_next_free_vgpr 6
		.amdhsa_next_free_sgpr 29
		.amdhsa_reserve_vcc 1
		.amdhsa_reserve_flat_scratch 0
		.amdhsa_float_round_mode_32 0
		.amdhsa_float_round_mode_16_64 0
		.amdhsa_float_denorm_mode_32 3
		.amdhsa_float_denorm_mode_16_64 3
		.amdhsa_dx10_clamp 1
		.amdhsa_ieee_mode 1
		.amdhsa_fp16_overflow 0
		.amdhsa_exception_fp_ieee_invalid_op 0
		.amdhsa_exception_fp_denorm_src 0
		.amdhsa_exception_fp_ieee_div_zero 0
		.amdhsa_exception_fp_ieee_overflow 0
		.amdhsa_exception_fp_ieee_underflow 0
		.amdhsa_exception_fp_ieee_inexact 0
		.amdhsa_exception_int_div_zero 0
	.end_amdhsa_kernel
	.section	.text._ZN9rocsolver6v33100L24stedc_mergeUpdate_kernelIfEEviiPT_lS3_iilS3_S3_Pi,"axG",@progbits,_ZN9rocsolver6v33100L24stedc_mergeUpdate_kernelIfEEviiPT_lS3_iilS3_S3_Pi,comdat
.Lfunc_end24:
	.size	_ZN9rocsolver6v33100L24stedc_mergeUpdate_kernelIfEEviiPT_lS3_iilS3_S3_Pi, .Lfunc_end24-_ZN9rocsolver6v33100L24stedc_mergeUpdate_kernelIfEEviiPT_lS3_iilS3_S3_Pi
                                        ; -- End function
	.set _ZN9rocsolver6v33100L24stedc_mergeUpdate_kernelIfEEviiPT_lS3_iilS3_S3_Pi.num_vgpr, 6
	.set _ZN9rocsolver6v33100L24stedc_mergeUpdate_kernelIfEEviiPT_lS3_iilS3_S3_Pi.num_agpr, 0
	.set _ZN9rocsolver6v33100L24stedc_mergeUpdate_kernelIfEEviiPT_lS3_iilS3_S3_Pi.numbered_sgpr, 29
	.set _ZN9rocsolver6v33100L24stedc_mergeUpdate_kernelIfEEviiPT_lS3_iilS3_S3_Pi.num_named_barrier, 0
	.set _ZN9rocsolver6v33100L24stedc_mergeUpdate_kernelIfEEviiPT_lS3_iilS3_S3_Pi.private_seg_size, 0
	.set _ZN9rocsolver6v33100L24stedc_mergeUpdate_kernelIfEEviiPT_lS3_iilS3_S3_Pi.uses_vcc, 1
	.set _ZN9rocsolver6v33100L24stedc_mergeUpdate_kernelIfEEviiPT_lS3_iilS3_S3_Pi.uses_flat_scratch, 0
	.set _ZN9rocsolver6v33100L24stedc_mergeUpdate_kernelIfEEviiPT_lS3_iilS3_S3_Pi.has_dyn_sized_stack, 0
	.set _ZN9rocsolver6v33100L24stedc_mergeUpdate_kernelIfEEviiPT_lS3_iilS3_S3_Pi.has_recursion, 0
	.set _ZN9rocsolver6v33100L24stedc_mergeUpdate_kernelIfEEviiPT_lS3_iilS3_S3_Pi.has_indirect_call, 0
	.section	.AMDGPU.csdata,"",@progbits
; Kernel info:
; codeLenInByte = 568
; TotalNumSgprs: 33
; NumVgprs: 6
; ScratchSize: 0
; MemoryBound: 0
; FloatMode: 240
; IeeeMode: 1
; LDSByteSize: 0 bytes/workgroup (compile time only)
; SGPRBlocks: 4
; VGPRBlocks: 1
; NumSGPRsForWavesPerEU: 33
; NumVGPRsForWavesPerEU: 6
; Occupancy: 10
; WaveLimiterHint : 0
; COMPUTE_PGM_RSRC2:SCRATCH_EN: 0
; COMPUTE_PGM_RSRC2:USER_SGPR: 6
; COMPUTE_PGM_RSRC2:TRAP_HANDLER: 0
; COMPUTE_PGM_RSRC2:TGID_X_EN: 1
; COMPUTE_PGM_RSRC2:TGID_Y_EN: 1
; COMPUTE_PGM_RSRC2:TGID_Z_EN: 0
; COMPUTE_PGM_RSRC2:TIDIG_COMP_CNT: 0
	.section	.text._ZN9rocsolver6v33100L8copy_matIfPfNS0_7no_maskEEEvNS0_17copymat_directionEiiT0_iilPT_T1_13rocblas_fill_17rocblas_diagonal_,"axG",@progbits,_ZN9rocsolver6v33100L8copy_matIfPfNS0_7no_maskEEEvNS0_17copymat_directionEiiT0_iilPT_T1_13rocblas_fill_17rocblas_diagonal_,comdat
	.globl	_ZN9rocsolver6v33100L8copy_matIfPfNS0_7no_maskEEEvNS0_17copymat_directionEiiT0_iilPT_T1_13rocblas_fill_17rocblas_diagonal_ ; -- Begin function _ZN9rocsolver6v33100L8copy_matIfPfNS0_7no_maskEEEvNS0_17copymat_directionEiiT0_iilPT_T1_13rocblas_fill_17rocblas_diagonal_
	.p2align	8
	.type	_ZN9rocsolver6v33100L8copy_matIfPfNS0_7no_maskEEEvNS0_17copymat_directionEiiT0_iilPT_T1_13rocblas_fill_17rocblas_diagonal_,@function
_ZN9rocsolver6v33100L8copy_matIfPfNS0_7no_maskEEEvNS0_17copymat_directionEiiT0_iilPT_T1_13rocblas_fill_17rocblas_diagonal_: ; @_ZN9rocsolver6v33100L8copy_matIfPfNS0_7no_maskEEEvNS0_17copymat_directionEiiT0_iilPT_T1_13rocblas_fill_17rocblas_diagonal_
; %bb.0:
	s_load_dword s0, s[4:5], 0x4c
	s_load_dwordx4 s[20:23], s[4:5], 0x0
	s_waitcnt lgkmcnt(0)
	s_lshr_b32 s1, s0, 16
	s_and_b32 s0, s0, 0xffff
	s_mul_i32 s7, s7, s1
	s_mul_i32 s6, s6, s0
	v_add_u32_e32 v1, s7, v1
	v_add_u32_e32 v0, s6, v0
	v_cmp_gt_u32_e32 vcc, s21, v0
	v_cmp_gt_u32_e64 s[0:1], s22, v1
	s_and_b64 s[0:1], s[0:1], vcc
	s_and_saveexec_b64 s[2:3], s[0:1]
	s_cbranch_execz .LBB25_14
; %bb.1:
	s_load_dwordx2 s[2:3], s[4:5], 0x34
	s_waitcnt lgkmcnt(0)
	s_cmpk_lt_i32 s2, 0x7a
	s_cbranch_scc1 .LBB25_4
; %bb.2:
	s_cmpk_gt_i32 s2, 0x7a
	s_cbranch_scc0 .LBB25_5
; %bb.3:
	s_cmpk_lg_i32 s2, 0x7b
	s_mov_b64 s[6:7], -1
	s_cselect_b64 s[10:11], -1, 0
	s_cbranch_execz .LBB25_6
	s_branch .LBB25_7
.LBB25_4:
	s_mov_b64 s[10:11], 0
	s_mov_b64 s[6:7], 0
	s_cbranch_execnz .LBB25_8
	s_branch .LBB25_10
.LBB25_5:
	s_mov_b64 s[6:7], 0
	s_mov_b64 s[10:11], 0
.LBB25_6:
	v_cmp_gt_u32_e32 vcc, v0, v1
	v_cmp_le_u32_e64 s[0:1], v0, v1
	s_andn2_b64 s[6:7], s[6:7], exec
	s_and_b64 s[12:13], vcc, exec
	s_andn2_b64 s[10:11], s[10:11], exec
	s_and_b64 s[0:1], s[0:1], exec
	s_or_b64 s[6:7], s[6:7], s[12:13]
	s_or_b64 s[10:11], s[10:11], s[0:1]
.LBB25_7:
	s_branch .LBB25_10
.LBB25_8:
	s_cmpk_eq_i32 s2, 0x79
	s_mov_b64 s[10:11], -1
	s_cbranch_scc0 .LBB25_10
; %bb.9:
	v_cmp_gt_u32_e32 vcc, v1, v0
	v_cmp_le_u32_e64 s[0:1], v1, v0
	s_andn2_b64 s[6:7], s[6:7], exec
	s_and_b64 s[10:11], vcc, exec
	s_or_b64 s[6:7], s[6:7], s[10:11]
	s_orn2_b64 s[10:11], s[0:1], exec
.LBB25_10:
	s_and_saveexec_b64 s[0:1], s[10:11]
; %bb.11:
	s_cmpk_eq_i32 s3, 0x83
	s_cselect_b64 s[2:3], -1, 0
	v_cmp_eq_u32_e32 vcc, v0, v1
	s_and_b64 s[2:3], s[2:3], vcc
	s_andn2_b64 s[6:7], s[6:7], exec
	s_and_b64 s[2:3], s[2:3], exec
	s_or_b64 s[6:7], s[6:7], s[2:3]
; %bb.12:
	s_or_b64 exec, exec, s[0:1]
	s_and_b64 exec, exec, s[6:7]
	s_cbranch_execz .LBB25_14
; %bb.13:
	s_load_dwordx8 s[12:19], s[4:5], 0x10
	s_ashr_i32 s4, s21, 31
	s_ashr_i32 s5, s22, 31
	s_mul_i32 s4, s4, s8
	s_waitcnt lgkmcnt(0)
	s_mul_i32 s2, s17, s8
	s_mul_hi_u32 s3, s16, s8
	s_add_i32 s3, s3, s2
	s_mul_i32 s2, s16, s8
	s_ashr_i32 s1, s14, 31
	s_lshl_b64 s[2:3], s[2:3], 2
	s_mov_b32 s0, s14
	s_add_u32 s2, s12, s2
	s_addc_u32 s3, s13, s3
	s_lshl_b64 s[0:1], s[0:1], 2
	s_add_u32 s2, s2, s0
	s_mul_hi_u32 s0, s21, s8
	s_addc_u32 s3, s3, s1
	s_add_i32 s0, s0, s4
	s_mul_i32 s4, s21, s8
	s_mul_i32 s1, s4, s5
	s_mul_hi_u32 s5, s4, s22
	s_add_i32 s1, s5, s1
	s_mul_i32 s0, s0, s22
	s_add_i32 s1, s1, s0
	s_mul_i32 s0, s4, s22
	s_lshl_b64 s[0:1], s[0:1], 2
	s_add_u32 s4, s18, s0
	s_addc_u32 s5, s19, s1
	s_cmp_eq_u32 s20, 0
	s_cselect_b32 s0, s15, s21
	v_mad_u64_u32 v[2:3], s[0:1], v1, s0, v[0:1]
	v_mov_b32_e32 v3, 0
	s_cselect_b32 s0, s3, s5
	v_lshlrev_b64 v[4:5], 2, v[2:3]
	s_cselect_b32 s1, s2, s4
	v_mov_b32_e32 v2, s0
	v_add_co_u32_e32 v4, vcc, s1, v4
	v_addc_co_u32_e32 v5, vcc, v2, v5, vcc
	global_load_dword v2, v[4:5], off
	s_cselect_b32 s0, s21, s15
	v_mad_u64_u32 v[0:1], s[0:1], v1, s0, v[0:1]
	v_mov_b32_e32 v1, v3
	s_cselect_b32 s0, s5, s3
	v_lshlrev_b64 v[0:1], 2, v[0:1]
	s_cselect_b32 s1, s4, s2
	v_mov_b32_e32 v3, s0
	v_add_co_u32_e32 v0, vcc, s1, v0
	v_addc_co_u32_e32 v1, vcc, v3, v1, vcc
	s_waitcnt vmcnt(0)
	global_store_dword v[0:1], v2, off
.LBB25_14:
	s_endpgm
	.section	.rodata,"a",@progbits
	.p2align	6, 0x0
	.amdhsa_kernel _ZN9rocsolver6v33100L8copy_matIfPfNS0_7no_maskEEEvNS0_17copymat_directionEiiT0_iilPT_T1_13rocblas_fill_17rocblas_diagonal_
		.amdhsa_group_segment_fixed_size 0
		.amdhsa_private_segment_fixed_size 0
		.amdhsa_kernarg_size 320
		.amdhsa_user_sgpr_count 6
		.amdhsa_user_sgpr_private_segment_buffer 1
		.amdhsa_user_sgpr_dispatch_ptr 0
		.amdhsa_user_sgpr_queue_ptr 0
		.amdhsa_user_sgpr_kernarg_segment_ptr 1
		.amdhsa_user_sgpr_dispatch_id 0
		.amdhsa_user_sgpr_flat_scratch_init 0
		.amdhsa_user_sgpr_private_segment_size 0
		.amdhsa_uses_dynamic_stack 0
		.amdhsa_system_sgpr_private_segment_wavefront_offset 0
		.amdhsa_system_sgpr_workgroup_id_x 1
		.amdhsa_system_sgpr_workgroup_id_y 1
		.amdhsa_system_sgpr_workgroup_id_z 1
		.amdhsa_system_sgpr_workgroup_info 0
		.amdhsa_system_vgpr_workitem_id 1
		.amdhsa_next_free_vgpr 6
		.amdhsa_next_free_sgpr 24
		.amdhsa_reserve_vcc 1
		.amdhsa_reserve_flat_scratch 0
		.amdhsa_float_round_mode_32 0
		.amdhsa_float_round_mode_16_64 0
		.amdhsa_float_denorm_mode_32 3
		.amdhsa_float_denorm_mode_16_64 3
		.amdhsa_dx10_clamp 1
		.amdhsa_ieee_mode 1
		.amdhsa_fp16_overflow 0
		.amdhsa_exception_fp_ieee_invalid_op 0
		.amdhsa_exception_fp_denorm_src 0
		.amdhsa_exception_fp_ieee_div_zero 0
		.amdhsa_exception_fp_ieee_overflow 0
		.amdhsa_exception_fp_ieee_underflow 0
		.amdhsa_exception_fp_ieee_inexact 0
		.amdhsa_exception_int_div_zero 0
	.end_amdhsa_kernel
	.section	.text._ZN9rocsolver6v33100L8copy_matIfPfNS0_7no_maskEEEvNS0_17copymat_directionEiiT0_iilPT_T1_13rocblas_fill_17rocblas_diagonal_,"axG",@progbits,_ZN9rocsolver6v33100L8copy_matIfPfNS0_7no_maskEEEvNS0_17copymat_directionEiiT0_iilPT_T1_13rocblas_fill_17rocblas_diagonal_,comdat
.Lfunc_end25:
	.size	_ZN9rocsolver6v33100L8copy_matIfPfNS0_7no_maskEEEvNS0_17copymat_directionEiiT0_iilPT_T1_13rocblas_fill_17rocblas_diagonal_, .Lfunc_end25-_ZN9rocsolver6v33100L8copy_matIfPfNS0_7no_maskEEEvNS0_17copymat_directionEiiT0_iilPT_T1_13rocblas_fill_17rocblas_diagonal_
                                        ; -- End function
	.set _ZN9rocsolver6v33100L8copy_matIfPfNS0_7no_maskEEEvNS0_17copymat_directionEiiT0_iilPT_T1_13rocblas_fill_17rocblas_diagonal_.num_vgpr, 6
	.set _ZN9rocsolver6v33100L8copy_matIfPfNS0_7no_maskEEEvNS0_17copymat_directionEiiT0_iilPT_T1_13rocblas_fill_17rocblas_diagonal_.num_agpr, 0
	.set _ZN9rocsolver6v33100L8copy_matIfPfNS0_7no_maskEEEvNS0_17copymat_directionEiiT0_iilPT_T1_13rocblas_fill_17rocblas_diagonal_.numbered_sgpr, 24
	.set _ZN9rocsolver6v33100L8copy_matIfPfNS0_7no_maskEEEvNS0_17copymat_directionEiiT0_iilPT_T1_13rocblas_fill_17rocblas_diagonal_.num_named_barrier, 0
	.set _ZN9rocsolver6v33100L8copy_matIfPfNS0_7no_maskEEEvNS0_17copymat_directionEiiT0_iilPT_T1_13rocblas_fill_17rocblas_diagonal_.private_seg_size, 0
	.set _ZN9rocsolver6v33100L8copy_matIfPfNS0_7no_maskEEEvNS0_17copymat_directionEiiT0_iilPT_T1_13rocblas_fill_17rocblas_diagonal_.uses_vcc, 1
	.set _ZN9rocsolver6v33100L8copy_matIfPfNS0_7no_maskEEEvNS0_17copymat_directionEiiT0_iilPT_T1_13rocblas_fill_17rocblas_diagonal_.uses_flat_scratch, 0
	.set _ZN9rocsolver6v33100L8copy_matIfPfNS0_7no_maskEEEvNS0_17copymat_directionEiiT0_iilPT_T1_13rocblas_fill_17rocblas_diagonal_.has_dyn_sized_stack, 0
	.set _ZN9rocsolver6v33100L8copy_matIfPfNS0_7no_maskEEEvNS0_17copymat_directionEiiT0_iilPT_T1_13rocblas_fill_17rocblas_diagonal_.has_recursion, 0
	.set _ZN9rocsolver6v33100L8copy_matIfPfNS0_7no_maskEEEvNS0_17copymat_directionEiiT0_iilPT_T1_13rocblas_fill_17rocblas_diagonal_.has_indirect_call, 0
	.section	.AMDGPU.csdata,"",@progbits
; Kernel info:
; codeLenInByte = 504
; TotalNumSgprs: 28
; NumVgprs: 6
; ScratchSize: 0
; MemoryBound: 0
; FloatMode: 240
; IeeeMode: 1
; LDSByteSize: 0 bytes/workgroup (compile time only)
; SGPRBlocks: 3
; VGPRBlocks: 1
; NumSGPRsForWavesPerEU: 28
; NumVGPRsForWavesPerEU: 6
; Occupancy: 10
; WaveLimiterHint : 0
; COMPUTE_PGM_RSRC2:SCRATCH_EN: 0
; COMPUTE_PGM_RSRC2:USER_SGPR: 6
; COMPUTE_PGM_RSRC2:TRAP_HANDLER: 0
; COMPUTE_PGM_RSRC2:TGID_X_EN: 1
; COMPUTE_PGM_RSRC2:TGID_Y_EN: 1
; COMPUTE_PGM_RSRC2:TGID_Z_EN: 1
; COMPUTE_PGM_RSRC2:TIDIG_COMP_CNT: 1
	.section	.text._ZN9rocsolver6v33100L11stedc_copyDIfEEviPT_lS3_l,"axG",@progbits,_ZN9rocsolver6v33100L11stedc_copyDIfEEviPT_lS3_l,comdat
	.globl	_ZN9rocsolver6v33100L11stedc_copyDIfEEviPT_lS3_l ; -- Begin function _ZN9rocsolver6v33100L11stedc_copyDIfEEviPT_lS3_l
	.p2align	8
	.type	_ZN9rocsolver6v33100L11stedc_copyDIfEEviPT_lS3_l,@function
_ZN9rocsolver6v33100L11stedc_copyDIfEEviPT_lS3_l: ; @_ZN9rocsolver6v33100L11stedc_copyDIfEEviPT_lS3_l
; %bb.0:
	s_load_dword s0, s[4:5], 0x34
	s_load_dword s37, s[4:5], 0x0
	s_waitcnt lgkmcnt(0)
	s_and_b32 s33, s0, 0xffff
	s_lshl_b32 s36, s33, 4
	v_cvt_f32_u32_e32 v1, s36
	s_sub_i32 s2, 0, s36
	s_add_i32 s0, s37, -1
	s_ashr_i32 s1, s0, 31
	v_rcp_iflag_f32_e32 v1, v1
	s_abs_i32 s0, s0
	v_mul_f32_e32 v1, 0x4f7ffffe, v1
	v_cvt_u32_f32_e32 v1, v1
	v_readfirstlane_b32 s3, v1
	s_mul_i32 s2, s2, s3
	s_mul_hi_u32 s2, s3, s2
	s_add_i32 s3, s3, s2
	s_mul_hi_u32 s2, s0, s3
	s_mul_i32 s3, s2, s36
	s_sub_i32 s0, s0, s3
	s_add_i32 s6, s2, 1
	s_sub_i32 s3, s0, s36
	s_cmp_ge_u32 s0, s36
	s_cselect_b32 s2, s6, s2
	s_cselect_b32 s0, s3, s0
	s_add_i32 s3, s2, 1
	s_cmp_ge_u32 s0, s36
	s_cselect_b32 s0, s3, s2
	s_xor_b32 s0, s0, s1
	s_sub_i32 s0, s0, s1
	s_cmp_lt_i32 s0, 0
	s_cbranch_scc1 .LBB26_67
; %bb.1:
	s_load_dwordx8 s[8:15], s[4:5], 0x8
	s_ashr_i32 s1, s7, 31
	v_mov_b32_e32 v32, 0
	s_mul_i32 s44, s33, 3
	s_mul_i32 s46, s33, 5
	s_waitcnt lgkmcnt(0)
	s_mul_hi_u32 s3, s10, s7
	s_mul_i32 s4, s10, s1
	s_mul_i32 s5, s11, s7
	s_add_i32 s3, s3, s4
	s_mul_i32 s2, s10, s7
	s_add_i32 s3, s3, s5
	s_lshl_b64 s[2:3], s[2:3], 2
	s_add_u32 s38, s8, s2
	s_mul_hi_u32 s2, s14, s7
	s_mul_i32 s1, s14, s1
	s_addc_u32 s39, s9, s3
	s_add_i32 s1, s2, s1
	s_mul_i32 s2, s15, s7
	s_add_i32 s3, s1, s2
	s_mul_i32 s2, s14, s7
	s_lshl_b64 s[2:3], s[2:3], 2
	s_add_u32 s40, s12, s2
	s_addc_u32 s41, s13, s3
	s_add_i32 s42, s0, 1
	s_lshl_b32 s43, s33, 1
	s_lshl_b32 s45, s33, 2
	s_mul_i32 s47, s33, 6
	s_mul_i32 s48, s33, 7
	s_lshl_b32 s49, s33, 3
	s_mul_i32 s50, s33, 9
	s_mul_i32 s51, s33, 10
	;; [unrolled: 1-line block ×7, first 2 shown]
	v_mov_b32_e32 v33, v32
	v_mov_b32_e32 v34, v32
	;; [unrolled: 1-line block ×15, first 2 shown]
	s_branch .LBB26_3
.LBB26_2:                               ;   in Loop: Header=BB26_3 Depth=1
	s_or_b64 exec, exec, s[0:1]
	s_add_i32 s42, s42, -1
	s_cmp_eq_u32 s42, 0
	v_add_u32_e32 v0, s36, v0
	s_cbranch_scc1 .LBB26_67
.LBB26_3:                               ; =>This Inner Loop Header: Depth=1
	v_cmp_gt_i32_e32 vcc, s37, v0
	v_ashrrev_i32_e32 v1, 31, v0
	s_and_saveexec_b64 s[2:3], vcc
	s_cbranch_execz .LBB26_5
; %bb.4:                                ;   in Loop: Header=BB26_3 Depth=1
	v_lshlrev_b64 v[2:3], 2, v[0:1]
	v_mov_b32_e32 v4, s39
	v_add_co_u32_e64 v2, s[0:1], s38, v2
	v_addc_co_u32_e64 v3, s[0:1], v4, v3, s[0:1]
	global_load_dword v32, v[2:3], off
.LBB26_5:                               ;   in Loop: Header=BB26_3 Depth=1
	s_or_b64 exec, exec, s[2:3]
	v_add_u32_e32 v2, s33, v0
	v_cmp_gt_i32_e64 s[0:1], s37, v2
	v_ashrrev_i32_e32 v3, 31, v2
	s_and_saveexec_b64 s[4:5], s[0:1]
	s_cbranch_execz .LBB26_7
; %bb.6:                                ;   in Loop: Header=BB26_3 Depth=1
	v_lshlrev_b64 v[4:5], 2, v[2:3]
	v_mov_b32_e32 v6, s39
	v_add_co_u32_e64 v4, s[2:3], s38, v4
	v_addc_co_u32_e64 v5, s[2:3], v6, v5, s[2:3]
	global_load_dword v33, v[4:5], off
.LBB26_7:                               ;   in Loop: Header=BB26_3 Depth=1
	s_or_b64 exec, exec, s[4:5]
	v_add_u32_e32 v4, s43, v0
	v_add_u32_e32 v7, s33, v2
	v_cmp_gt_i32_e64 s[2:3], s37, v7
	v_ashrrev_i32_e32 v5, 31, v4
	s_and_saveexec_b64 s[6:7], s[2:3]
	s_cbranch_execz .LBB26_9
; %bb.8:                                ;   in Loop: Header=BB26_3 Depth=1
	v_lshlrev_b64 v[8:9], 2, v[4:5]
	v_mov_b32_e32 v6, s39
	v_add_co_u32_e64 v8, s[4:5], s38, v8
	v_addc_co_u32_e64 v9, s[4:5], v6, v9, s[4:5]
	global_load_dword v34, v[8:9], off
.LBB26_9:                               ;   in Loop: Header=BB26_3 Depth=1
	s_or_b64 exec, exec, s[6:7]
	v_add_u32_e32 v6, s44, v0
	v_add_u32_e32 v9, s33, v7
	v_cmp_gt_i32_e64 s[4:5], s37, v9
	v_ashrrev_i32_e32 v7, 31, v6
	s_and_saveexec_b64 s[8:9], s[4:5]
	s_cbranch_execz .LBB26_11
; %bb.10:                               ;   in Loop: Header=BB26_3 Depth=1
	v_lshlrev_b64 v[10:11], 2, v[6:7]
	v_mov_b32_e32 v8, s39
	v_add_co_u32_e64 v10, s[6:7], s38, v10
	v_addc_co_u32_e64 v11, s[6:7], v8, v11, s[6:7]
	global_load_dword v35, v[10:11], off
.LBB26_11:                              ;   in Loop: Header=BB26_3 Depth=1
	s_or_b64 exec, exec, s[8:9]
	v_add_u32_e32 v8, s45, v0
	v_add_u32_e32 v11, s33, v9
	v_cmp_gt_i32_e64 s[6:7], s37, v11
	v_ashrrev_i32_e32 v9, 31, v8
	s_and_saveexec_b64 s[10:11], s[6:7]
	s_cbranch_execz .LBB26_13
; %bb.12:                               ;   in Loop: Header=BB26_3 Depth=1
	v_lshlrev_b64 v[12:13], 2, v[8:9]
	v_mov_b32_e32 v10, s39
	v_add_co_u32_e64 v12, s[8:9], s38, v12
	v_addc_co_u32_e64 v13, s[8:9], v10, v13, s[8:9]
	global_load_dword v36, v[12:13], off
.LBB26_13:                              ;   in Loop: Header=BB26_3 Depth=1
	;; [unrolled: 14-line block ×12, first 2 shown]
	s_or_b64 exec, exec, s[30:31]
	v_add_u32_e32 v30, s56, v0
	v_add_u32_e32 v31, s33, v31
	v_cmp_gt_i32_e64 s[28:29], s37, v31
	v_ashrrev_i32_e32 v31, 31, v30
	s_and_saveexec_b64 s[34:35], s[28:29]
	s_cbranch_execnz .LBB26_50
; %bb.34:                               ;   in Loop: Header=BB26_3 Depth=1
	s_or_b64 exec, exec, s[34:35]
	s_and_saveexec_b64 s[30:31], vcc
	s_cbranch_execnz .LBB26_51
.LBB26_35:                              ;   in Loop: Header=BB26_3 Depth=1
	s_or_b64 exec, exec, s[30:31]
	s_and_saveexec_b64 s[30:31], s[0:1]
	s_cbranch_execnz .LBB26_52
.LBB26_36:                              ;   in Loop: Header=BB26_3 Depth=1
	s_or_b64 exec, exec, s[30:31]
	s_and_saveexec_b64 s[0:1], s[2:3]
	s_cbranch_execnz .LBB26_53
.LBB26_37:                              ;   in Loop: Header=BB26_3 Depth=1
	s_or_b64 exec, exec, s[0:1]
	s_and_saveexec_b64 s[0:1], s[4:5]
	s_cbranch_execnz .LBB26_54
.LBB26_38:                              ;   in Loop: Header=BB26_3 Depth=1
	s_or_b64 exec, exec, s[0:1]
	s_and_saveexec_b64 s[0:1], s[6:7]
	s_cbranch_execnz .LBB26_55
.LBB26_39:                              ;   in Loop: Header=BB26_3 Depth=1
	s_or_b64 exec, exec, s[0:1]
	s_and_saveexec_b64 s[0:1], s[8:9]
	s_cbranch_execnz .LBB26_56
.LBB26_40:                              ;   in Loop: Header=BB26_3 Depth=1
	s_or_b64 exec, exec, s[0:1]
	s_and_saveexec_b64 s[0:1], s[10:11]
	s_cbranch_execnz .LBB26_57
.LBB26_41:                              ;   in Loop: Header=BB26_3 Depth=1
	s_or_b64 exec, exec, s[0:1]
	s_and_saveexec_b64 s[0:1], s[12:13]
	s_cbranch_execnz .LBB26_58
.LBB26_42:                              ;   in Loop: Header=BB26_3 Depth=1
	s_or_b64 exec, exec, s[0:1]
	s_and_saveexec_b64 s[0:1], s[14:15]
	s_cbranch_execnz .LBB26_59
.LBB26_43:                              ;   in Loop: Header=BB26_3 Depth=1
	s_or_b64 exec, exec, s[0:1]
	s_and_saveexec_b64 s[0:1], s[16:17]
	s_cbranch_execnz .LBB26_60
.LBB26_44:                              ;   in Loop: Header=BB26_3 Depth=1
	s_or_b64 exec, exec, s[0:1]
	s_and_saveexec_b64 s[0:1], s[18:19]
	s_cbranch_execnz .LBB26_61
.LBB26_45:                              ;   in Loop: Header=BB26_3 Depth=1
	s_or_b64 exec, exec, s[0:1]
	s_and_saveexec_b64 s[0:1], s[20:21]
	s_cbranch_execnz .LBB26_62
.LBB26_46:                              ;   in Loop: Header=BB26_3 Depth=1
	s_or_b64 exec, exec, s[0:1]
	s_and_saveexec_b64 s[0:1], s[22:23]
	s_cbranch_execnz .LBB26_63
.LBB26_47:                              ;   in Loop: Header=BB26_3 Depth=1
	s_or_b64 exec, exec, s[0:1]
	s_and_saveexec_b64 s[0:1], s[24:25]
	s_cbranch_execnz .LBB26_64
.LBB26_48:                              ;   in Loop: Header=BB26_3 Depth=1
	s_or_b64 exec, exec, s[0:1]
	s_and_saveexec_b64 s[0:1], s[26:27]
	s_cbranch_execnz .LBB26_65
.LBB26_49:                              ;   in Loop: Header=BB26_3 Depth=1
	s_or_b64 exec, exec, s[0:1]
	s_and_saveexec_b64 s[0:1], s[28:29]
	s_cbranch_execz .LBB26_2
	s_branch .LBB26_66
.LBB26_50:                              ;   in Loop: Header=BB26_3 Depth=1
	s_waitcnt vmcnt(0)
	v_lshlrev_b64 v[47:48], 2, v[30:31]
	v_mov_b32_e32 v49, s39
	v_add_co_u32_e64 v47, s[30:31], s38, v47
	v_addc_co_u32_e64 v48, s[30:31], v49, v48, s[30:31]
	global_load_dword v47, v[47:48], off
	s_or_b64 exec, exec, s[34:35]
	s_and_saveexec_b64 s[30:31], vcc
	s_cbranch_execz .LBB26_35
.LBB26_51:                              ;   in Loop: Header=BB26_3 Depth=1
	v_lshlrev_b64 v[48:49], 2, v[0:1]
	v_mov_b32_e32 v1, s41
	v_add_co_u32_e32 v48, vcc, s40, v48
	v_addc_co_u32_e32 v49, vcc, v1, v49, vcc
	s_waitcnt vmcnt(0)
	global_store_dword v[48:49], v32, off
	s_or_b64 exec, exec, s[30:31]
	s_and_saveexec_b64 s[30:31], s[0:1]
	s_cbranch_execz .LBB26_36
.LBB26_52:                              ;   in Loop: Header=BB26_3 Depth=1
	v_lshlrev_b64 v[1:2], 2, v[2:3]
	v_mov_b32_e32 v3, s41
	v_add_co_u32_e32 v1, vcc, s40, v1
	v_addc_co_u32_e32 v2, vcc, v3, v2, vcc
	s_waitcnt vmcnt(0)
	global_store_dword v[1:2], v33, off
	s_or_b64 exec, exec, s[30:31]
	s_and_saveexec_b64 s[0:1], s[2:3]
	s_cbranch_execz .LBB26_37
.LBB26_53:                              ;   in Loop: Header=BB26_3 Depth=1
	v_lshlrev_b64 v[1:2], 2, v[4:5]
	v_mov_b32_e32 v3, s41
	v_add_co_u32_e32 v1, vcc, s40, v1
	v_addc_co_u32_e32 v2, vcc, v3, v2, vcc
	s_waitcnt vmcnt(0)
	global_store_dword v[1:2], v34, off
	s_or_b64 exec, exec, s[0:1]
	s_and_saveexec_b64 s[0:1], s[4:5]
	s_cbranch_execz .LBB26_38
.LBB26_54:                              ;   in Loop: Header=BB26_3 Depth=1
	v_lshlrev_b64 v[1:2], 2, v[6:7]
	v_mov_b32_e32 v3, s41
	v_add_co_u32_e32 v1, vcc, s40, v1
	v_addc_co_u32_e32 v2, vcc, v3, v2, vcc
	s_waitcnt vmcnt(0)
	global_store_dword v[1:2], v35, off
	s_or_b64 exec, exec, s[0:1]
	s_and_saveexec_b64 s[0:1], s[6:7]
	s_cbranch_execz .LBB26_39
.LBB26_55:                              ;   in Loop: Header=BB26_3 Depth=1
	v_lshlrev_b64 v[1:2], 2, v[8:9]
	v_mov_b32_e32 v3, s41
	v_add_co_u32_e32 v1, vcc, s40, v1
	v_addc_co_u32_e32 v2, vcc, v3, v2, vcc
	s_waitcnt vmcnt(0)
	global_store_dword v[1:2], v36, off
	s_or_b64 exec, exec, s[0:1]
	s_and_saveexec_b64 s[0:1], s[8:9]
	s_cbranch_execz .LBB26_40
.LBB26_56:                              ;   in Loop: Header=BB26_3 Depth=1
	v_lshlrev_b64 v[1:2], 2, v[10:11]
	v_mov_b32_e32 v3, s41
	v_add_co_u32_e32 v1, vcc, s40, v1
	v_addc_co_u32_e32 v2, vcc, v3, v2, vcc
	s_waitcnt vmcnt(0)
	global_store_dword v[1:2], v37, off
	s_or_b64 exec, exec, s[0:1]
	s_and_saveexec_b64 s[0:1], s[10:11]
	s_cbranch_execz .LBB26_41
.LBB26_57:                              ;   in Loop: Header=BB26_3 Depth=1
	v_lshlrev_b64 v[1:2], 2, v[12:13]
	v_mov_b32_e32 v3, s41
	v_add_co_u32_e32 v1, vcc, s40, v1
	v_addc_co_u32_e32 v2, vcc, v3, v2, vcc
	s_waitcnt vmcnt(0)
	global_store_dword v[1:2], v38, off
	s_or_b64 exec, exec, s[0:1]
	s_and_saveexec_b64 s[0:1], s[12:13]
	s_cbranch_execz .LBB26_42
.LBB26_58:                              ;   in Loop: Header=BB26_3 Depth=1
	v_lshlrev_b64 v[1:2], 2, v[14:15]
	v_mov_b32_e32 v3, s41
	v_add_co_u32_e32 v1, vcc, s40, v1
	v_addc_co_u32_e32 v2, vcc, v3, v2, vcc
	s_waitcnt vmcnt(0)
	global_store_dword v[1:2], v39, off
	s_or_b64 exec, exec, s[0:1]
	s_and_saveexec_b64 s[0:1], s[14:15]
	s_cbranch_execz .LBB26_43
.LBB26_59:                              ;   in Loop: Header=BB26_3 Depth=1
	v_lshlrev_b64 v[1:2], 2, v[16:17]
	v_mov_b32_e32 v3, s41
	v_add_co_u32_e32 v1, vcc, s40, v1
	v_addc_co_u32_e32 v2, vcc, v3, v2, vcc
	s_waitcnt vmcnt(0)
	global_store_dword v[1:2], v40, off
	s_or_b64 exec, exec, s[0:1]
	s_and_saveexec_b64 s[0:1], s[16:17]
	s_cbranch_execz .LBB26_44
.LBB26_60:                              ;   in Loop: Header=BB26_3 Depth=1
	v_lshlrev_b64 v[1:2], 2, v[18:19]
	v_mov_b32_e32 v3, s41
	v_add_co_u32_e32 v1, vcc, s40, v1
	v_addc_co_u32_e32 v2, vcc, v3, v2, vcc
	s_waitcnt vmcnt(0)
	global_store_dword v[1:2], v41, off
	s_or_b64 exec, exec, s[0:1]
	s_and_saveexec_b64 s[0:1], s[18:19]
	s_cbranch_execz .LBB26_45
.LBB26_61:                              ;   in Loop: Header=BB26_3 Depth=1
	v_lshlrev_b64 v[1:2], 2, v[20:21]
	v_mov_b32_e32 v3, s41
	v_add_co_u32_e32 v1, vcc, s40, v1
	v_addc_co_u32_e32 v2, vcc, v3, v2, vcc
	s_waitcnt vmcnt(0)
	global_store_dword v[1:2], v42, off
	s_or_b64 exec, exec, s[0:1]
	s_and_saveexec_b64 s[0:1], s[20:21]
	s_cbranch_execz .LBB26_46
.LBB26_62:                              ;   in Loop: Header=BB26_3 Depth=1
	v_lshlrev_b64 v[1:2], 2, v[22:23]
	v_mov_b32_e32 v3, s41
	v_add_co_u32_e32 v1, vcc, s40, v1
	v_addc_co_u32_e32 v2, vcc, v3, v2, vcc
	s_waitcnt vmcnt(0)
	global_store_dword v[1:2], v43, off
	s_or_b64 exec, exec, s[0:1]
	s_and_saveexec_b64 s[0:1], s[22:23]
	s_cbranch_execz .LBB26_47
.LBB26_63:                              ;   in Loop: Header=BB26_3 Depth=1
	v_lshlrev_b64 v[1:2], 2, v[24:25]
	v_mov_b32_e32 v3, s41
	v_add_co_u32_e32 v1, vcc, s40, v1
	v_addc_co_u32_e32 v2, vcc, v3, v2, vcc
	s_waitcnt vmcnt(0)
	global_store_dword v[1:2], v44, off
	s_or_b64 exec, exec, s[0:1]
	s_and_saveexec_b64 s[0:1], s[24:25]
	s_cbranch_execz .LBB26_48
.LBB26_64:                              ;   in Loop: Header=BB26_3 Depth=1
	v_lshlrev_b64 v[1:2], 2, v[26:27]
	v_mov_b32_e32 v3, s41
	v_add_co_u32_e32 v1, vcc, s40, v1
	v_addc_co_u32_e32 v2, vcc, v3, v2, vcc
	s_waitcnt vmcnt(0)
	global_store_dword v[1:2], v45, off
	s_or_b64 exec, exec, s[0:1]
	s_and_saveexec_b64 s[0:1], s[26:27]
	s_cbranch_execz .LBB26_49
.LBB26_65:                              ;   in Loop: Header=BB26_3 Depth=1
	v_lshlrev_b64 v[1:2], 2, v[28:29]
	v_mov_b32_e32 v3, s41
	v_add_co_u32_e32 v1, vcc, s40, v1
	v_addc_co_u32_e32 v2, vcc, v3, v2, vcc
	s_waitcnt vmcnt(0)
	global_store_dword v[1:2], v46, off
	s_or_b64 exec, exec, s[0:1]
	s_and_saveexec_b64 s[0:1], s[28:29]
	s_cbranch_execz .LBB26_2
.LBB26_66:                              ;   in Loop: Header=BB26_3 Depth=1
	v_lshlrev_b64 v[1:2], 2, v[30:31]
	v_mov_b32_e32 v3, s41
	v_add_co_u32_e32 v1, vcc, s40, v1
	v_addc_co_u32_e32 v2, vcc, v3, v2, vcc
	s_waitcnt vmcnt(0)
	global_store_dword v[1:2], v47, off
	s_branch .LBB26_2
.LBB26_67:
	s_endpgm
	.section	.rodata,"a",@progbits
	.p2align	6, 0x0
	.amdhsa_kernel _ZN9rocsolver6v33100L11stedc_copyDIfEEviPT_lS3_l
		.amdhsa_group_segment_fixed_size 0
		.amdhsa_private_segment_fixed_size 0
		.amdhsa_kernarg_size 296
		.amdhsa_user_sgpr_count 6
		.amdhsa_user_sgpr_private_segment_buffer 1
		.amdhsa_user_sgpr_dispatch_ptr 0
		.amdhsa_user_sgpr_queue_ptr 0
		.amdhsa_user_sgpr_kernarg_segment_ptr 1
		.amdhsa_user_sgpr_dispatch_id 0
		.amdhsa_user_sgpr_flat_scratch_init 0
		.amdhsa_user_sgpr_private_segment_size 0
		.amdhsa_uses_dynamic_stack 0
		.amdhsa_system_sgpr_private_segment_wavefront_offset 0
		.amdhsa_system_sgpr_workgroup_id_x 1
		.amdhsa_system_sgpr_workgroup_id_y 1
		.amdhsa_system_sgpr_workgroup_id_z 0
		.amdhsa_system_sgpr_workgroup_info 0
		.amdhsa_system_vgpr_workitem_id 0
		.amdhsa_next_free_vgpr 50
		.amdhsa_next_free_sgpr 57
		.amdhsa_reserve_vcc 1
		.amdhsa_reserve_flat_scratch 0
		.amdhsa_float_round_mode_32 0
		.amdhsa_float_round_mode_16_64 0
		.amdhsa_float_denorm_mode_32 3
		.amdhsa_float_denorm_mode_16_64 3
		.amdhsa_dx10_clamp 1
		.amdhsa_ieee_mode 1
		.amdhsa_fp16_overflow 0
		.amdhsa_exception_fp_ieee_invalid_op 0
		.amdhsa_exception_fp_denorm_src 0
		.amdhsa_exception_fp_ieee_div_zero 0
		.amdhsa_exception_fp_ieee_overflow 0
		.amdhsa_exception_fp_ieee_underflow 0
		.amdhsa_exception_fp_ieee_inexact 0
		.amdhsa_exception_int_div_zero 0
	.end_amdhsa_kernel
	.section	.text._ZN9rocsolver6v33100L11stedc_copyDIfEEviPT_lS3_l,"axG",@progbits,_ZN9rocsolver6v33100L11stedc_copyDIfEEviPT_lS3_l,comdat
.Lfunc_end26:
	.size	_ZN9rocsolver6v33100L11stedc_copyDIfEEviPT_lS3_l, .Lfunc_end26-_ZN9rocsolver6v33100L11stedc_copyDIfEEviPT_lS3_l
                                        ; -- End function
	.set _ZN9rocsolver6v33100L11stedc_copyDIfEEviPT_lS3_l.num_vgpr, 50
	.set _ZN9rocsolver6v33100L11stedc_copyDIfEEviPT_lS3_l.num_agpr, 0
	.set _ZN9rocsolver6v33100L11stedc_copyDIfEEviPT_lS3_l.numbered_sgpr, 57
	.set _ZN9rocsolver6v33100L11stedc_copyDIfEEviPT_lS3_l.num_named_barrier, 0
	.set _ZN9rocsolver6v33100L11stedc_copyDIfEEviPT_lS3_l.private_seg_size, 0
	.set _ZN9rocsolver6v33100L11stedc_copyDIfEEviPT_lS3_l.uses_vcc, 1
	.set _ZN9rocsolver6v33100L11stedc_copyDIfEEviPT_lS3_l.uses_flat_scratch, 0
	.set _ZN9rocsolver6v33100L11stedc_copyDIfEEviPT_lS3_l.has_dyn_sized_stack, 0
	.set _ZN9rocsolver6v33100L11stedc_copyDIfEEviPT_lS3_l.has_recursion, 0
	.set _ZN9rocsolver6v33100L11stedc_copyDIfEEviPT_lS3_l.has_indirect_call, 0
	.section	.AMDGPU.csdata,"",@progbits
; Kernel info:
; codeLenInByte = 2360
; TotalNumSgprs: 61
; NumVgprs: 50
; ScratchSize: 0
; MemoryBound: 0
; FloatMode: 240
; IeeeMode: 1
; LDSByteSize: 0 bytes/workgroup (compile time only)
; SGPRBlocks: 7
; VGPRBlocks: 12
; NumSGPRsForWavesPerEU: 61
; NumVGPRsForWavesPerEU: 50
; Occupancy: 4
; WaveLimiterHint : 0
; COMPUTE_PGM_RSRC2:SCRATCH_EN: 0
; COMPUTE_PGM_RSRC2:USER_SGPR: 6
; COMPUTE_PGM_RSRC2:TRAP_HANDLER: 0
; COMPUTE_PGM_RSRC2:TGID_X_EN: 1
; COMPUTE_PGM_RSRC2:TGID_Y_EN: 1
; COMPUTE_PGM_RSRC2:TGID_Z_EN: 0
; COMPUTE_PGM_RSRC2:TIDIG_COMP_CNT: 0
	.section	.text._ZN9rocsolver6v33100L10stedc_sortIffPfS2_EEviPT0_lS4_lT1_iilT2_iil,"axG",@progbits,_ZN9rocsolver6v33100L10stedc_sortIffPfS2_EEviPT0_lS4_lT1_iilT2_iil,comdat
	.globl	_ZN9rocsolver6v33100L10stedc_sortIffPfS2_EEviPT0_lS4_lT1_iilT2_iil ; -- Begin function _ZN9rocsolver6v33100L10stedc_sortIffPfS2_EEviPT0_lS4_lT1_iilT2_iil
	.p2align	8
	.type	_ZN9rocsolver6v33100L10stedc_sortIffPfS2_EEviPT0_lS4_lT1_iilT2_iil,@function
_ZN9rocsolver6v33100L10stedc_sortIffPfS2_EEviPT0_lS4_lT1_iilT2_iil: ; @_ZN9rocsolver6v33100L10stedc_sortIffPfS2_EEviPT0_lS4_lT1_iilT2_iil
; %bb.0:
	s_load_dwordx8 s[36:43], s[4:5], 0x8
	s_ashr_i32 s64, s7, 31
	s_load_dword s2, s[4:5], 0x64
	s_mov_b32 s33, s7
	s_load_dword s52, s[4:5], 0x0
	s_waitcnt lgkmcnt(0)
	s_mul_hi_u32 s0, s38, s7
	s_mul_i32 s1, s38, s64
	s_add_i32 s0, s0, s1
	s_mul_i32 s1, s39, s7
	s_add_i32 s1, s0, s1
	s_mul_i32 s0, s38, s7
	s_lshl_b64 s[0:1], s[0:1], 2
	s_add_u32 s66, s36, s0
	s_addc_u32 s67, s37, s1
	s_ashr_i32 s7, s6, 31
	s_lshl_b64 s[44:45], s[6:7], 2
	s_add_u32 s0, s66, s44
	s_addc_u32 s1, s67, s45
	s_and_b32 s50, s2, 0xffff
	s_lshl_b32 s51, s50, 4
	v_cvt_f32_u32_e32 v1, s51
	s_sub_i32 s2, 0, s51
	s_load_dwordx2 s[38:39], s[4:5], 0x28
	s_load_dword s65, s[0:1], 0x0
	s_add_i32 s0, s52, -1
	v_rcp_iflag_f32_e32 v1, v1
	s_ashr_i32 s1, s0, 31
	s_abs_i32 s0, s0
	s_mul_i32 s53, s50, 3
	v_mul_f32_e32 v1, 0x4f7ffffe, v1
	v_cvt_u32_f32_e32 v1, v1
	s_mul_i32 s54, s50, 5
	s_mul_i32 s55, s50, 6
	;; [unrolled: 1-line block ×3, first 2 shown]
	v_readfirstlane_b32 s3, v1
	s_mul_i32 s2, s2, s3
	s_mul_hi_u32 s2, s3, s2
	s_add_i32 s3, s3, s2
	s_mul_hi_u32 s2, s0, s3
	s_mul_i32 s3, s2, s51
	s_sub_i32 s0, s0, s3
	s_add_i32 s3, s2, 1
	s_sub_i32 s7, s0, s51
	s_cmp_ge_u32 s0, s51
	s_cselect_b32 s2, s3, s2
	s_cselect_b32 s0, s7, s0
	s_add_i32 s3, s2, 1
	s_cmp_ge_u32 s0, s51
	s_cselect_b32 s0, s3, s2
	s_xor_b32 s0, s0, s1
	s_sub_i32 s7, s0, s1
	s_cmp_gt_i32 s7, -1
	s_cselect_b64 s[46:47], -1, 0
	s_cmp_lt_i32 s7, 0
	s_mul_i32 s57, s50, 9
	s_mul_i32 s58, s50, 10
	;; [unrolled: 1-line block ×7, first 2 shown]
	s_cbranch_scc1 .LBB27_67
; %bb.1:
	v_mov_b32_e32 v1, 0
	v_mov_b32_e32 v2, v1
	v_mov_b32_e32 v3, v1
	v_mov_b32_e32 v4, v1
	v_mov_b32_e32 v5, v1
	v_mov_b32_e32 v6, v1
	v_mov_b32_e32 v7, v1
	v_mov_b32_e32 v8, v1
	v_mov_b32_e32 v9, v1
	v_mov_b32_e32 v10, v1
	v_mov_b32_e32 v11, v1
	v_mov_b32_e32 v12, v1
	v_mov_b32_e32 v13, v1
	v_mov_b32_e32 v14, v1
	v_mov_b32_e32 v15, v1
	v_mov_b32_e32 v16, v1
	v_mov_b32_e32 v17, v16
	s_add_i32 s68, s7, 1
	s_lshl_b32 s69, s50, 1
	s_lshl_b32 s70, s50, 2
	;; [unrolled: 1-line block ×3, first 2 shown]
	v_mov_b32_e32 v18, v0
	v_mov_b32_e32 v35, v1
	;; [unrolled: 1-line block ×18, first 2 shown]
	s_branch .LBB27_3
.LBB27_2:                               ;   in Loop: Header=BB27_3 Depth=1
	s_or_b64 exec, exec, s[2:3]
	s_add_i32 s68, s68, -1
	s_cmp_eq_u32 s68, 0
	v_add_u32_e32 v18, s51, v18
	s_cbranch_scc1 .LBB27_68
.LBB27_3:                               ; =>This Inner Loop Header: Depth=1
	v_cmp_gt_i32_e32 vcc, s52, v18
	s_and_saveexec_b64 s[2:3], vcc
	s_cbranch_execz .LBB27_5
; %bb.4:                                ;   in Loop: Header=BB27_3 Depth=1
	v_ashrrev_i32_e32 v19, 31, v18
	v_lshlrev_b64 v[19:20], 2, v[18:19]
	s_waitcnt vmcnt(0)
	v_mov_b32_e32 v2, s67
	v_add_co_u32_e64 v19, s[0:1], s66, v19
	v_addc_co_u32_e64 v20, s[0:1], v2, v20, s[0:1]
	global_load_dword v2, v[19:20], off
.LBB27_5:                               ;   in Loop: Header=BB27_3 Depth=1
	s_or_b64 exec, exec, s[2:3]
	v_add_u32_e32 v19, s50, v18
	v_cmp_gt_i32_e64 s[0:1], s52, v19
	s_and_saveexec_b64 s[8:9], s[0:1]
	s_cbranch_execz .LBB27_7
; %bb.6:                                ;   in Loop: Header=BB27_3 Depth=1
	v_ashrrev_i32_e32 v20, 31, v19
	v_lshlrev_b64 v[20:21], 2, v[19:20]
	s_waitcnt vmcnt(0)
	v_mov_b32_e32 v3, s67
	v_add_co_u32_e64 v20, s[2:3], s66, v20
	v_addc_co_u32_e64 v21, s[2:3], v3, v21, s[2:3]
	global_load_dword v3, v[20:21], off
.LBB27_7:                               ;   in Loop: Header=BB27_3 Depth=1
	s_or_b64 exec, exec, s[8:9]
	v_add_u32_e32 v20, s69, v18
	v_cmp_gt_i32_e64 s[2:3], s52, v20
	s_and_saveexec_b64 s[10:11], s[2:3]
	;; [unrolled: 14-line block ×3, first 2 shown]
	s_cbranch_execz .LBB27_11
; %bb.10:                               ;   in Loop: Header=BB27_3 Depth=1
	v_ashrrev_i32_e32 v22, 31, v21
	v_lshlrev_b64 v[22:23], 2, v[21:22]
	s_waitcnt vmcnt(0)
	v_mov_b32_e32 v5, s67
	v_add_co_u32_e64 v22, s[10:11], s66, v22
	v_addc_co_u32_e64 v23, s[10:11], v5, v23, s[10:11]
	global_load_dword v5, v[22:23], off
.LBB27_11:                              ;   in Loop: Header=BB27_3 Depth=1
	s_or_b64 exec, exec, s[12:13]
	v_add_u32_e32 v22, s70, v18
	v_cmp_gt_i32_e64 s[10:11], s52, v22
	s_and_saveexec_b64 s[14:15], s[10:11]
	s_cbranch_execz .LBB27_13
; %bb.12:                               ;   in Loop: Header=BB27_3 Depth=1
	v_ashrrev_i32_e32 v23, 31, v22
	v_lshlrev_b64 v[23:24], 2, v[22:23]
	s_waitcnt vmcnt(0)
	v_mov_b32_e32 v6, s67
	v_add_co_u32_e64 v23, s[12:13], s66, v23
	v_addc_co_u32_e64 v24, s[12:13], v6, v24, s[12:13]
	global_load_dword v6, v[23:24], off
.LBB27_13:                              ;   in Loop: Header=BB27_3 Depth=1
	s_or_b64 exec, exec, s[14:15]
	v_add_u32_e32 v23, s54, v18
	v_cmp_gt_i32_e64 s[12:13], s52, v23
	s_and_saveexec_b64 s[16:17], s[12:13]
	;; [unrolled: 14-line block ×12, first 2 shown]
	s_cbranch_execnz .LBB27_50
; %bb.34:                               ;   in Loop: Header=BB27_3 Depth=1
	s_or_b64 exec, exec, s[48:49]
	s_and_saveexec_b64 s[48:49], vcc
	s_cbranch_execnz .LBB27_51
.LBB27_35:                              ;   in Loop: Header=BB27_3 Depth=1
	s_or_b64 exec, exec, s[48:49]
	s_and_saveexec_b64 s[36:37], s[0:1]
	s_cbranch_execnz .LBB27_52
.LBB27_36:                              ;   in Loop: Header=BB27_3 Depth=1
	s_or_b64 exec, exec, s[36:37]
	s_and_saveexec_b64 s[36:37], s[2:3]
	s_cbranch_execnz .LBB27_53
.LBB27_37:                              ;   in Loop: Header=BB27_3 Depth=1
	s_or_b64 exec, exec, s[36:37]
	s_and_saveexec_b64 s[2:3], s[8:9]
	s_cbranch_execnz .LBB27_54
.LBB27_38:                              ;   in Loop: Header=BB27_3 Depth=1
	s_or_b64 exec, exec, s[2:3]
	s_and_saveexec_b64 s[2:3], s[10:11]
	s_cbranch_execnz .LBB27_55
.LBB27_39:                              ;   in Loop: Header=BB27_3 Depth=1
	s_or_b64 exec, exec, s[2:3]
	s_and_saveexec_b64 s[2:3], s[12:13]
	s_cbranch_execnz .LBB27_56
.LBB27_40:                              ;   in Loop: Header=BB27_3 Depth=1
	s_or_b64 exec, exec, s[2:3]
	s_and_saveexec_b64 s[2:3], s[14:15]
	s_cbranch_execnz .LBB27_57
.LBB27_41:                              ;   in Loop: Header=BB27_3 Depth=1
	s_or_b64 exec, exec, s[2:3]
	s_and_saveexec_b64 s[2:3], s[16:17]
	s_cbranch_execnz .LBB27_58
.LBB27_42:                              ;   in Loop: Header=BB27_3 Depth=1
	s_or_b64 exec, exec, s[2:3]
	s_and_saveexec_b64 s[2:3], s[18:19]
	s_cbranch_execnz .LBB27_59
.LBB27_43:                              ;   in Loop: Header=BB27_3 Depth=1
	s_or_b64 exec, exec, s[2:3]
	s_and_saveexec_b64 s[2:3], s[20:21]
	s_cbranch_execnz .LBB27_60
.LBB27_44:                              ;   in Loop: Header=BB27_3 Depth=1
	s_or_b64 exec, exec, s[2:3]
	s_and_saveexec_b64 s[2:3], s[22:23]
	s_cbranch_execnz .LBB27_61
.LBB27_45:                              ;   in Loop: Header=BB27_3 Depth=1
	s_or_b64 exec, exec, s[2:3]
	s_and_saveexec_b64 s[2:3], s[24:25]
	s_cbranch_execnz .LBB27_62
.LBB27_46:                              ;   in Loop: Header=BB27_3 Depth=1
	s_or_b64 exec, exec, s[2:3]
	s_and_saveexec_b64 s[2:3], s[26:27]
	s_cbranch_execnz .LBB27_63
.LBB27_47:                              ;   in Loop: Header=BB27_3 Depth=1
	s_or_b64 exec, exec, s[2:3]
	s_and_saveexec_b64 s[2:3], s[28:29]
	s_cbranch_execnz .LBB27_64
.LBB27_48:                              ;   in Loop: Header=BB27_3 Depth=1
	s_or_b64 exec, exec, s[2:3]
	s_and_saveexec_b64 s[2:3], s[30:31]
	s_cbranch_execnz .LBB27_65
.LBB27_49:                              ;   in Loop: Header=BB27_3 Depth=1
	s_or_b64 exec, exec, s[2:3]
	s_and_saveexec_b64 s[2:3], s[34:35]
	s_cbranch_execz .LBB27_2
	s_branch .LBB27_66
.LBB27_50:                              ;   in Loop: Header=BB27_3 Depth=1
	v_ashrrev_i32_e32 v34, 31, v33
	v_lshlrev_b64 v[37:38], 2, v[33:34]
	s_waitcnt vmcnt(0)
	v_mov_b32_e32 v17, s67
	v_add_co_u32_e64 v37, s[36:37], s66, v37
	v_addc_co_u32_e64 v38, s[36:37], v17, v38, s[36:37]
	global_load_dword v17, v[37:38], off
	s_or_b64 exec, exec, s[48:49]
	s_and_saveexec_b64 s[48:49], vcc
	s_cbranch_execz .LBB27_35
.LBB27_51:                              ;   in Loop: Header=BB27_3 Depth=1
	s_waitcnt vmcnt(0)
	v_cmp_u_f32_e32 vcc, v2, v2
	v_addc_co_u32_e32 v1, vcc, 0, v1, vcc
	s_waitcnt lgkmcnt(0)
	v_cmp_gt_f32_e32 vcc, s65, v2
	v_addc_co_u32_e32 v35, vcc, 0, v35, vcc
	v_cmp_eq_f32_e32 vcc, s65, v2
	v_cmp_gt_i32_e64 s[36:37], s6, v18
	s_and_b64 vcc, vcc, s[36:37]
	v_addc_co_u32_e32 v36, vcc, 0, v36, vcc
	s_or_b64 exec, exec, s[48:49]
	s_and_saveexec_b64 s[36:37], s[0:1]
	s_cbranch_execz .LBB27_36
.LBB27_52:                              ;   in Loop: Header=BB27_3 Depth=1
	s_waitcnt vmcnt(0)
	v_cmp_u_f32_e32 vcc, v3, v3
	v_addc_co_u32_e32 v1, vcc, 0, v1, vcc
	s_waitcnt lgkmcnt(0)
	v_cmp_gt_f32_e32 vcc, s65, v3
	v_addc_co_u32_e32 v35, vcc, 0, v35, vcc
	v_cmp_eq_f32_e32 vcc, s65, v3
	v_cmp_gt_i32_e64 s[0:1], s6, v19
	s_and_b64 vcc, vcc, s[0:1]
	v_addc_co_u32_e32 v36, vcc, 0, v36, vcc
	s_or_b64 exec, exec, s[36:37]
	s_and_saveexec_b64 s[36:37], s[2:3]
	s_cbranch_execz .LBB27_37
.LBB27_53:                              ;   in Loop: Header=BB27_3 Depth=1
	s_waitcnt vmcnt(0)
	v_cmp_u_f32_e32 vcc, v4, v4
	v_addc_co_u32_e32 v1, vcc, 0, v1, vcc
	s_waitcnt lgkmcnt(0)
	v_cmp_gt_f32_e32 vcc, s65, v4
	v_addc_co_u32_e32 v35, vcc, 0, v35, vcc
	v_cmp_eq_f32_e32 vcc, s65, v4
	v_cmp_gt_i32_e64 s[0:1], s6, v20
	s_and_b64 vcc, vcc, s[0:1]
	v_addc_co_u32_e32 v36, vcc, 0, v36, vcc
	s_or_b64 exec, exec, s[36:37]
	s_and_saveexec_b64 s[2:3], s[8:9]
	s_cbranch_execz .LBB27_38
.LBB27_54:                              ;   in Loop: Header=BB27_3 Depth=1
	s_waitcnt vmcnt(0)
	v_cmp_u_f32_e32 vcc, v5, v5
	v_addc_co_u32_e32 v1, vcc, 0, v1, vcc
	s_waitcnt lgkmcnt(0)
	v_cmp_gt_f32_e32 vcc, s65, v5
	v_addc_co_u32_e32 v35, vcc, 0, v35, vcc
	v_cmp_eq_f32_e32 vcc, s65, v5
	v_cmp_gt_i32_e64 s[0:1], s6, v21
	s_and_b64 vcc, vcc, s[0:1]
	v_addc_co_u32_e32 v36, vcc, 0, v36, vcc
	s_or_b64 exec, exec, s[2:3]
	s_and_saveexec_b64 s[2:3], s[10:11]
	s_cbranch_execz .LBB27_39
.LBB27_55:                              ;   in Loop: Header=BB27_3 Depth=1
	s_waitcnt vmcnt(0)
	v_cmp_u_f32_e32 vcc, v6, v6
	v_addc_co_u32_e32 v1, vcc, 0, v1, vcc
	s_waitcnt lgkmcnt(0)
	v_cmp_gt_f32_e32 vcc, s65, v6
	v_addc_co_u32_e32 v35, vcc, 0, v35, vcc
	v_cmp_eq_f32_e32 vcc, s65, v6
	v_cmp_gt_i32_e64 s[0:1], s6, v22
	s_and_b64 vcc, vcc, s[0:1]
	v_addc_co_u32_e32 v36, vcc, 0, v36, vcc
	s_or_b64 exec, exec, s[2:3]
	s_and_saveexec_b64 s[2:3], s[12:13]
	s_cbranch_execz .LBB27_40
.LBB27_56:                              ;   in Loop: Header=BB27_3 Depth=1
	s_waitcnt vmcnt(0)
	v_cmp_u_f32_e32 vcc, v7, v7
	v_addc_co_u32_e32 v1, vcc, 0, v1, vcc
	s_waitcnt lgkmcnt(0)
	v_cmp_gt_f32_e32 vcc, s65, v7
	v_addc_co_u32_e32 v35, vcc, 0, v35, vcc
	v_cmp_eq_f32_e32 vcc, s65, v7
	v_cmp_gt_i32_e64 s[0:1], s6, v23
	s_and_b64 vcc, vcc, s[0:1]
	v_addc_co_u32_e32 v36, vcc, 0, v36, vcc
	s_or_b64 exec, exec, s[2:3]
	s_and_saveexec_b64 s[2:3], s[14:15]
	s_cbranch_execz .LBB27_41
.LBB27_57:                              ;   in Loop: Header=BB27_3 Depth=1
	s_waitcnt vmcnt(0)
	v_cmp_u_f32_e32 vcc, v8, v8
	v_addc_co_u32_e32 v1, vcc, 0, v1, vcc
	s_waitcnt lgkmcnt(0)
	v_cmp_gt_f32_e32 vcc, s65, v8
	v_addc_co_u32_e32 v35, vcc, 0, v35, vcc
	v_cmp_eq_f32_e32 vcc, s65, v8
	v_cmp_gt_i32_e64 s[0:1], s6, v24
	s_and_b64 vcc, vcc, s[0:1]
	v_addc_co_u32_e32 v36, vcc, 0, v36, vcc
	s_or_b64 exec, exec, s[2:3]
	s_and_saveexec_b64 s[2:3], s[16:17]
	s_cbranch_execz .LBB27_42
.LBB27_58:                              ;   in Loop: Header=BB27_3 Depth=1
	s_waitcnt vmcnt(0)
	v_cmp_u_f32_e32 vcc, v9, v9
	v_addc_co_u32_e32 v1, vcc, 0, v1, vcc
	s_waitcnt lgkmcnt(0)
	v_cmp_gt_f32_e32 vcc, s65, v9
	v_addc_co_u32_e32 v35, vcc, 0, v35, vcc
	v_cmp_eq_f32_e32 vcc, s65, v9
	v_cmp_gt_i32_e64 s[0:1], s6, v25
	s_and_b64 vcc, vcc, s[0:1]
	v_addc_co_u32_e32 v36, vcc, 0, v36, vcc
	s_or_b64 exec, exec, s[2:3]
	s_and_saveexec_b64 s[2:3], s[18:19]
	s_cbranch_execz .LBB27_43
.LBB27_59:                              ;   in Loop: Header=BB27_3 Depth=1
	s_waitcnt vmcnt(0)
	v_cmp_u_f32_e32 vcc, v10, v10
	v_addc_co_u32_e32 v1, vcc, 0, v1, vcc
	s_waitcnt lgkmcnt(0)
	v_cmp_gt_f32_e32 vcc, s65, v10
	v_addc_co_u32_e32 v35, vcc, 0, v35, vcc
	v_cmp_eq_f32_e32 vcc, s65, v10
	v_cmp_gt_i32_e64 s[0:1], s6, v26
	s_and_b64 vcc, vcc, s[0:1]
	v_addc_co_u32_e32 v36, vcc, 0, v36, vcc
	s_or_b64 exec, exec, s[2:3]
	s_and_saveexec_b64 s[2:3], s[20:21]
	s_cbranch_execz .LBB27_44
.LBB27_60:                              ;   in Loop: Header=BB27_3 Depth=1
	s_waitcnt vmcnt(0)
	v_cmp_u_f32_e32 vcc, v11, v11
	v_addc_co_u32_e32 v1, vcc, 0, v1, vcc
	s_waitcnt lgkmcnt(0)
	v_cmp_gt_f32_e32 vcc, s65, v11
	v_addc_co_u32_e32 v35, vcc, 0, v35, vcc
	v_cmp_eq_f32_e32 vcc, s65, v11
	v_cmp_gt_i32_e64 s[0:1], s6, v27
	s_and_b64 vcc, vcc, s[0:1]
	v_addc_co_u32_e32 v36, vcc, 0, v36, vcc
	s_or_b64 exec, exec, s[2:3]
	s_and_saveexec_b64 s[2:3], s[22:23]
	s_cbranch_execz .LBB27_45
.LBB27_61:                              ;   in Loop: Header=BB27_3 Depth=1
	s_waitcnt vmcnt(0)
	v_cmp_u_f32_e32 vcc, v12, v12
	v_addc_co_u32_e32 v1, vcc, 0, v1, vcc
	s_waitcnt lgkmcnt(0)
	v_cmp_gt_f32_e32 vcc, s65, v12
	v_addc_co_u32_e32 v35, vcc, 0, v35, vcc
	v_cmp_eq_f32_e32 vcc, s65, v12
	v_cmp_gt_i32_e64 s[0:1], s6, v28
	s_and_b64 vcc, vcc, s[0:1]
	v_addc_co_u32_e32 v36, vcc, 0, v36, vcc
	s_or_b64 exec, exec, s[2:3]
	s_and_saveexec_b64 s[2:3], s[24:25]
	s_cbranch_execz .LBB27_46
.LBB27_62:                              ;   in Loop: Header=BB27_3 Depth=1
	s_waitcnt vmcnt(0)
	v_cmp_u_f32_e32 vcc, v13, v13
	v_addc_co_u32_e32 v1, vcc, 0, v1, vcc
	s_waitcnt lgkmcnt(0)
	v_cmp_gt_f32_e32 vcc, s65, v13
	v_addc_co_u32_e32 v35, vcc, 0, v35, vcc
	v_cmp_eq_f32_e32 vcc, s65, v13
	v_cmp_gt_i32_e64 s[0:1], s6, v29
	s_and_b64 vcc, vcc, s[0:1]
	v_addc_co_u32_e32 v36, vcc, 0, v36, vcc
	s_or_b64 exec, exec, s[2:3]
	s_and_saveexec_b64 s[2:3], s[26:27]
	s_cbranch_execz .LBB27_47
.LBB27_63:                              ;   in Loop: Header=BB27_3 Depth=1
	s_waitcnt vmcnt(0)
	v_cmp_u_f32_e32 vcc, v14, v14
	v_addc_co_u32_e32 v1, vcc, 0, v1, vcc
	s_waitcnt lgkmcnt(0)
	v_cmp_gt_f32_e32 vcc, s65, v14
	v_addc_co_u32_e32 v35, vcc, 0, v35, vcc
	v_cmp_eq_f32_e32 vcc, s65, v14
	v_cmp_gt_i32_e64 s[0:1], s6, v30
	s_and_b64 vcc, vcc, s[0:1]
	v_addc_co_u32_e32 v36, vcc, 0, v36, vcc
	s_or_b64 exec, exec, s[2:3]
	s_and_saveexec_b64 s[2:3], s[28:29]
	s_cbranch_execz .LBB27_48
.LBB27_64:                              ;   in Loop: Header=BB27_3 Depth=1
	s_waitcnt vmcnt(0)
	v_cmp_u_f32_e32 vcc, v15, v15
	v_addc_co_u32_e32 v1, vcc, 0, v1, vcc
	s_waitcnt lgkmcnt(0)
	v_cmp_gt_f32_e32 vcc, s65, v15
	v_addc_co_u32_e32 v35, vcc, 0, v35, vcc
	v_cmp_eq_f32_e32 vcc, s65, v15
	v_cmp_gt_i32_e64 s[0:1], s6, v31
	s_and_b64 vcc, vcc, s[0:1]
	v_addc_co_u32_e32 v36, vcc, 0, v36, vcc
	s_or_b64 exec, exec, s[2:3]
	s_and_saveexec_b64 s[2:3], s[30:31]
	s_cbranch_execz .LBB27_49
.LBB27_65:                              ;   in Loop: Header=BB27_3 Depth=1
	s_waitcnt vmcnt(0)
	v_cmp_u_f32_e32 vcc, v16, v16
	v_addc_co_u32_e32 v1, vcc, 0, v1, vcc
	s_waitcnt lgkmcnt(0)
	v_cmp_gt_f32_e32 vcc, s65, v16
	v_addc_co_u32_e32 v35, vcc, 0, v35, vcc
	v_cmp_eq_f32_e32 vcc, s65, v16
	v_cmp_gt_i32_e64 s[0:1], s6, v32
	s_and_b64 vcc, vcc, s[0:1]
	v_addc_co_u32_e32 v36, vcc, 0, v36, vcc
	s_or_b64 exec, exec, s[2:3]
	s_and_saveexec_b64 s[2:3], s[34:35]
	s_cbranch_execz .LBB27_2
.LBB27_66:                              ;   in Loop: Header=BB27_3 Depth=1
	s_waitcnt vmcnt(0)
	v_cmp_u_f32_e32 vcc, v17, v17
	v_addc_co_u32_e32 v1, vcc, 0, v1, vcc
	s_waitcnt lgkmcnt(0)
	v_cmp_gt_f32_e32 vcc, s65, v17
	v_addc_co_u32_e32 v35, vcc, 0, v35, vcc
	v_cmp_eq_f32_e32 vcc, s65, v17
	v_cmp_gt_i32_e64 s[0:1], s6, v33
	s_and_b64 vcc, vcc, s[0:1]
	v_addc_co_u32_e32 v36, vcc, 0, v36, vcc
	s_branch .LBB27_2
.LBB27_67:
	v_mov_b32_e32 v18, 0
	v_mov_b32_e32 v19, v18
	;; [unrolled: 1-line block ×32, first 2 shown]
	s_mov_b64 s[0:1], -1
	v_lshlrev_b32_e32 v1, 2, v0
	s_cmp_lt_u32 s50, 2
	ds_write_b32 v1, v18
	s_cbranch_scc0 .LBB27_69
	s_branch .LBB27_73
.LBB27_68:
	v_add_u32_e32 v18, v35, v36
	v_cmp_eq_u32_e64 s[0:1], 0, v1
	v_lshlrev_b32_e32 v1, 2, v0
	s_cmp_lt_u32 s50, 2
	ds_write_b32 v1, v18
	s_cbranch_scc1 .LBB27_73
.LBB27_69:
	s_mov_b32 s8, s50
	s_branch .LBB27_71
.LBB27_70:                              ;   in Loop: Header=BB27_71 Depth=1
	s_or_b64 exec, exec, s[2:3]
	s_cmp_lt_u32 s8, 4
	s_mov_b32 s8, s9
	s_cbranch_scc1 .LBB27_73
.LBB27_71:                              ; =>This Inner Loop Header: Depth=1
	s_lshr_b32 s9, s8, 1
	v_cmp_gt_u32_e32 vcc, s9, v0
	s_waitcnt vmcnt(0) lgkmcnt(0)
	s_barrier
	s_and_saveexec_b64 s[2:3], vcc
	s_cbranch_execz .LBB27_70
; %bb.72:                               ;   in Loop: Header=BB27_71 Depth=1
	v_lshl_add_u32 v19, s9, 2, v1
	ds_read_b32 v19, v19
	s_waitcnt lgkmcnt(0)
	v_add_u32_e32 v18, v19, v18
	ds_write_b32 v1, v18
	s_branch .LBB27_70
.LBB27_73:
	v_mov_b32_e32 v1, 0
	s_xor_b64 s[2:3], s[0:1], -1
	s_mul_i32 s0, s42, s64
	s_mul_hi_u32 s1, s42, s33
	s_waitcnt vmcnt(0) lgkmcnt(0)
	s_barrier
	ds_read_b32 v18, v1
	s_add_i32 s0, s1, s0
	s_mul_i32 s1, s43, s33
	s_add_i32 s1, s0, s1
	s_mul_i32 s0, s42, s33
	s_lshl_b64 s[0:1], s[0:1], 2
	s_add_u32 s10, s40, s0
	s_addc_u32 s11, s41, s1
	s_waitcnt lgkmcnt(0)
	v_readfirstlane_b32 s0, v18
	v_cmp_eq_u32_e32 vcc, 0, v0
	s_and_saveexec_b64 s[8:9], vcc
	s_cbranch_execnz .LBB27_76
; %bb.74:
	s_or_b64 exec, exec, s[8:9]
	s_and_saveexec_b64 s[8:9], s[2:3]
	s_cbranch_execnz .LBB27_77
.LBB27_75:
	s_or_b64 exec, exec, s[8:9]
	s_andn2_b64 vcc, exec, s[46:47]
	s_cbranch_vccz .LBB27_78
	s_branch .LBB27_144
.LBB27_76:
	s_ashr_i32 s1, s0, 31
	s_lshl_b64 s[12:13], s[0:1], 2
	s_add_u32 s12, s10, s12
	s_addc_u32 s13, s11, s13
	v_mov_b32_e32 v18, s65
	global_store_dword v1, v18, s[12:13]
	s_or_b64 exec, exec, s[8:9]
	s_and_saveexec_b64 s[8:9], s[2:3]
	s_cbranch_execz .LBB27_75
.LBB27_77:
	s_add_u32 s2, s10, s44
	s_addc_u32 s3, s11, s45
	v_mov_b32_e32 v1, 0
	v_mov_b32_e32 v18, 0x7fc00000
	global_store_dword v1, v18, s[2:3]
	s_or_b64 exec, exec, s[8:9]
	s_andn2_b64 vcc, exec, s[46:47]
	s_cbranch_vccnz .LBB27_144
.LBB27_78:
	s_load_dwordx2 s[2:3], s[4:5], 0x30
	s_load_dwordx8 s[8:15], s[4:5], 0x38
	s_waitcnt lgkmcnt(0)
	s_ashr_i32 s5, s2, 31
	s_mov_b32 s4, s2
	s_mul_i32 s1, s8, s64
	s_mul_hi_u32 s2, s8, s33
	s_add_i32 s1, s2, s1
	s_mul_i32 s2, s9, s33
	s_add_i32 s9, s1, s2
	s_mul_i32 s8, s8, s33
	s_lshl_b64 s[8:9], s[8:9], 2
	s_add_u32 s1, s38, s8
	s_addc_u32 s2, s39, s9
	s_lshl_b64 s[4:5], s[4:5], 2
	s_add_u32 s1, s1, s4
	s_addc_u32 s16, s2, s5
	s_mul_i32 s2, s14, s64
	s_mul_hi_u32 s8, s14, s33
	s_add_i32 s2, s8, s2
	s_mul_i32 s8, s15, s33
	s_add_i32 s9, s2, s8
	s_mul_i32 s8, s14, s33
	s_ashr_i32 s5, s12, 31
	s_lshl_b64 s[8:9], s[8:9], 2
	s_mov_b32 s4, s12
	s_add_u32 s2, s10, s8
	s_addc_u32 s8, s11, s9
	s_lshl_b64 s[4:5], s[4:5], 2
	s_add_u32 s4, s2, s4
	s_mul_i32 s2, s3, s6
	s_addc_u32 s5, s8, s5
	s_ashr_i32 s3, s2, 31
	s_lshl_b64 s[2:3], s[2:3], 2
	s_add_u32 s33, s1, s2
	s_mul_i32 s0, s0, s13
	s_addc_u32 s36, s16, s3
	s_ashr_i32 s1, s0, 31
	s_lshl_b64 s[0:1], s[0:1], 2
	s_add_u32 s37, s4, s0
	s_addc_u32 s38, s5, s1
	s_add_i32 s39, s7, 1
	s_lshl_b32 s40, s50, 1
	s_lshl_b32 s41, s50, 2
	;; [unrolled: 1-line block ×3, first 2 shown]
	s_branch .LBB27_80
.LBB27_79:                              ;   in Loop: Header=BB27_80 Depth=1
	s_or_b64 exec, exec, s[0:1]
	s_add_i32 s39, s39, -1
	s_cmp_eq_u32 s39, 0
	v_add_u32_e32 v0, s51, v0
	s_cbranch_scc1 .LBB27_144
.LBB27_80:                              ; =>This Inner Loop Header: Depth=1
	v_cmp_gt_i32_e32 vcc, s52, v0
	v_ashrrev_i32_e32 v1, 31, v0
	s_and_saveexec_b64 s[2:3], vcc
	s_cbranch_execz .LBB27_82
; %bb.81:                               ;   in Loop: Header=BB27_80 Depth=1
	v_lshlrev_b64 v[18:19], 2, v[0:1]
	s_waitcnt vmcnt(0)
	v_mov_b32_e32 v2, s36
	v_add_co_u32_e64 v18, s[0:1], s33, v18
	v_addc_co_u32_e64 v19, s[0:1], v2, v19, s[0:1]
	global_load_dword v2, v[18:19], off
.LBB27_82:                              ;   in Loop: Header=BB27_80 Depth=1
	s_or_b64 exec, exec, s[2:3]
	v_add_u32_e32 v18, s50, v0
	v_cmp_gt_i32_e64 s[0:1], s52, v18
	v_ashrrev_i32_e32 v19, 31, v18
	s_and_saveexec_b64 s[4:5], s[0:1]
	s_cbranch_execz .LBB27_84
; %bb.83:                               ;   in Loop: Header=BB27_80 Depth=1
	v_lshlrev_b64 v[20:21], 2, v[18:19]
	s_waitcnt vmcnt(0)
	v_mov_b32_e32 v3, s36
	v_add_co_u32_e64 v20, s[2:3], s33, v20
	v_addc_co_u32_e64 v21, s[2:3], v3, v21, s[2:3]
	global_load_dword v3, v[20:21], off
.LBB27_84:                              ;   in Loop: Header=BB27_80 Depth=1
	s_or_b64 exec, exec, s[4:5]
	v_add_u32_e32 v20, s40, v0
	v_add_u32_e32 v23, s50, v18
	v_cmp_gt_i32_e64 s[2:3], s52, v23
	v_ashrrev_i32_e32 v21, 31, v20
	s_and_saveexec_b64 s[6:7], s[2:3]
	s_cbranch_execz .LBB27_86
; %bb.85:                               ;   in Loop: Header=BB27_80 Depth=1
	v_lshlrev_b64 v[24:25], 2, v[20:21]
	s_waitcnt vmcnt(0)
	v_mov_b32_e32 v4, s36
	v_add_co_u32_e64 v24, s[4:5], s33, v24
	v_addc_co_u32_e64 v25, s[4:5], v4, v25, s[4:5]
	global_load_dword v4, v[24:25], off
.LBB27_86:                              ;   in Loop: Header=BB27_80 Depth=1
	s_or_b64 exec, exec, s[6:7]
	v_add_u32_e32 v22, s53, v0
	;; [unrolled: 15-line block ×8, first 2 shown]
	v_add_u32_e32 v37, s50, v35
	v_cmp_gt_i32_e64 s[16:17], s52, v37
	v_ashrrev_i32_e32 v35, 31, v34
	s_and_saveexec_b64 s[20:21], s[16:17]
	s_cbranch_execz .LBB27_100
; %bb.99:                               ;   in Loop: Header=BB27_80 Depth=1
	v_lshlrev_b64 v[38:39], 2, v[34:35]
	s_waitcnt vmcnt(0)
	v_mov_b32_e32 v11, s36
	v_add_co_u32_e64 v38, s[18:19], s33, v38
	v_addc_co_u32_e64 v39, s[18:19], v11, v39, s[18:19]
	global_load_dword v11, v[38:39], off
.LBB27_100:                             ;   in Loop: Header=BB27_80 Depth=1
	s_or_b64 exec, exec, s[20:21]
	v_add_u32_e32 v36, s58, v0
	v_add_u32_e32 v39, s50, v37
	v_cmp_gt_i32_e64 s[18:19], s52, v39
	v_ashrrev_i32_e32 v37, 31, v36
	s_and_saveexec_b64 s[22:23], s[18:19]
	s_cbranch_execz .LBB27_102
; %bb.101:                              ;   in Loop: Header=BB27_80 Depth=1
	v_lshlrev_b64 v[40:41], 2, v[36:37]
	s_waitcnt vmcnt(0)
	v_mov_b32_e32 v12, s36
	v_add_co_u32_e64 v40, s[20:21], s33, v40
	v_addc_co_u32_e64 v41, s[20:21], v12, v41, s[20:21]
	global_load_dword v12, v[40:41], off
.LBB27_102:                             ;   in Loop: Header=BB27_80 Depth=1
	s_or_b64 exec, exec, s[22:23]
	v_add_u32_e32 v38, s59, v0
	v_add_u32_e32 v41, s50, v39
	v_cmp_gt_i32_e64 s[20:21], s52, v41
	v_ashrrev_i32_e32 v39, 31, v38
	s_and_saveexec_b64 s[24:25], s[20:21]
	s_cbranch_execz .LBB27_104
; %bb.103:                              ;   in Loop: Header=BB27_80 Depth=1
	v_lshlrev_b64 v[42:43], 2, v[38:39]
	s_waitcnt vmcnt(0)
	v_mov_b32_e32 v13, s36
	v_add_co_u32_e64 v42, s[22:23], s33, v42
	v_addc_co_u32_e64 v43, s[22:23], v13, v43, s[22:23]
	global_load_dword v13, v[42:43], off
.LBB27_104:                             ;   in Loop: Header=BB27_80 Depth=1
	;; [unrolled: 15-line block ×5, first 2 shown]
	s_or_b64 exec, exec, s[30:31]
	v_add_u32_e32 v46, s63, v0
	v_add_u32_e32 v47, s50, v47
	v_cmp_gt_i32_e64 s[28:29], s52, v47
	v_ashrrev_i32_e32 v47, 31, v46
	s_and_saveexec_b64 s[34:35], s[28:29]
	s_cbranch_execnz .LBB27_127
; %bb.111:                              ;   in Loop: Header=BB27_80 Depth=1
	s_or_b64 exec, exec, s[34:35]
	s_and_saveexec_b64 s[30:31], vcc
	s_cbranch_execnz .LBB27_128
.LBB27_112:                             ;   in Loop: Header=BB27_80 Depth=1
	s_or_b64 exec, exec, s[30:31]
	s_and_saveexec_b64 s[30:31], s[0:1]
	s_cbranch_execnz .LBB27_129
.LBB27_113:                             ;   in Loop: Header=BB27_80 Depth=1
	s_or_b64 exec, exec, s[30:31]
	s_and_saveexec_b64 s[0:1], s[2:3]
	s_cbranch_execnz .LBB27_130
.LBB27_114:                             ;   in Loop: Header=BB27_80 Depth=1
	s_or_b64 exec, exec, s[0:1]
	s_and_saveexec_b64 s[0:1], s[4:5]
	s_cbranch_execnz .LBB27_131
.LBB27_115:                             ;   in Loop: Header=BB27_80 Depth=1
	s_or_b64 exec, exec, s[0:1]
	s_and_saveexec_b64 s[0:1], s[6:7]
	s_cbranch_execnz .LBB27_132
.LBB27_116:                             ;   in Loop: Header=BB27_80 Depth=1
	s_or_b64 exec, exec, s[0:1]
	s_and_saveexec_b64 s[0:1], s[8:9]
	s_cbranch_execnz .LBB27_133
.LBB27_117:                             ;   in Loop: Header=BB27_80 Depth=1
	s_or_b64 exec, exec, s[0:1]
	s_and_saveexec_b64 s[0:1], s[10:11]
	s_cbranch_execnz .LBB27_134
.LBB27_118:                             ;   in Loop: Header=BB27_80 Depth=1
	s_or_b64 exec, exec, s[0:1]
	s_and_saveexec_b64 s[0:1], s[12:13]
	s_cbranch_execnz .LBB27_135
.LBB27_119:                             ;   in Loop: Header=BB27_80 Depth=1
	s_or_b64 exec, exec, s[0:1]
	s_and_saveexec_b64 s[0:1], s[14:15]
	s_cbranch_execnz .LBB27_136
.LBB27_120:                             ;   in Loop: Header=BB27_80 Depth=1
	s_or_b64 exec, exec, s[0:1]
	s_and_saveexec_b64 s[0:1], s[16:17]
	s_cbranch_execnz .LBB27_137
.LBB27_121:                             ;   in Loop: Header=BB27_80 Depth=1
	s_or_b64 exec, exec, s[0:1]
	s_and_saveexec_b64 s[0:1], s[18:19]
	s_cbranch_execnz .LBB27_138
.LBB27_122:                             ;   in Loop: Header=BB27_80 Depth=1
	s_or_b64 exec, exec, s[0:1]
	s_and_saveexec_b64 s[0:1], s[20:21]
	s_cbranch_execnz .LBB27_139
.LBB27_123:                             ;   in Loop: Header=BB27_80 Depth=1
	s_or_b64 exec, exec, s[0:1]
	s_and_saveexec_b64 s[0:1], s[22:23]
	s_cbranch_execnz .LBB27_140
.LBB27_124:                             ;   in Loop: Header=BB27_80 Depth=1
	s_or_b64 exec, exec, s[0:1]
	s_and_saveexec_b64 s[0:1], s[24:25]
	s_cbranch_execnz .LBB27_141
.LBB27_125:                             ;   in Loop: Header=BB27_80 Depth=1
	s_or_b64 exec, exec, s[0:1]
	s_and_saveexec_b64 s[0:1], s[26:27]
	s_cbranch_execnz .LBB27_142
.LBB27_126:                             ;   in Loop: Header=BB27_80 Depth=1
	s_or_b64 exec, exec, s[0:1]
	s_and_saveexec_b64 s[0:1], s[28:29]
	s_cbranch_execz .LBB27_79
	s_branch .LBB27_143
.LBB27_127:                             ;   in Loop: Header=BB27_80 Depth=1
	v_lshlrev_b64 v[48:49], 2, v[46:47]
	s_waitcnt vmcnt(0)
	v_mov_b32_e32 v17, s36
	v_add_co_u32_e64 v48, s[30:31], s33, v48
	v_addc_co_u32_e64 v49, s[30:31], v17, v49, s[30:31]
	global_load_dword v17, v[48:49], off
	s_or_b64 exec, exec, s[34:35]
	s_and_saveexec_b64 s[30:31], vcc
	s_cbranch_execz .LBB27_112
.LBB27_128:                             ;   in Loop: Header=BB27_80 Depth=1
	v_lshlrev_b64 v[48:49], 2, v[0:1]
	v_mov_b32_e32 v1, s38
	v_add_co_u32_e32 v48, vcc, s37, v48
	v_addc_co_u32_e32 v49, vcc, v1, v49, vcc
	s_waitcnt vmcnt(0)
	global_store_dword v[48:49], v2, off
	s_or_b64 exec, exec, s[30:31]
	s_and_saveexec_b64 s[30:31], s[0:1]
	s_cbranch_execz .LBB27_113
.LBB27_129:                             ;   in Loop: Header=BB27_80 Depth=1
	v_lshlrev_b64 v[18:19], 2, v[18:19]
	v_mov_b32_e32 v1, s38
	v_add_co_u32_e32 v18, vcc, s37, v18
	v_addc_co_u32_e32 v19, vcc, v1, v19, vcc
	s_waitcnt vmcnt(0)
	global_store_dword v[18:19], v3, off
	s_or_b64 exec, exec, s[30:31]
	s_and_saveexec_b64 s[0:1], s[2:3]
	s_cbranch_execz .LBB27_114
.LBB27_130:                             ;   in Loop: Header=BB27_80 Depth=1
	v_lshlrev_b64 v[18:19], 2, v[20:21]
	v_mov_b32_e32 v1, s38
	v_add_co_u32_e32 v18, vcc, s37, v18
	v_addc_co_u32_e32 v19, vcc, v1, v19, vcc
	s_waitcnt vmcnt(0)
	global_store_dword v[18:19], v4, off
	s_or_b64 exec, exec, s[0:1]
	s_and_saveexec_b64 s[0:1], s[4:5]
	s_cbranch_execz .LBB27_115
.LBB27_131:                             ;   in Loop: Header=BB27_80 Depth=1
	v_lshlrev_b64 v[18:19], 2, v[22:23]
	v_mov_b32_e32 v1, s38
	v_add_co_u32_e32 v18, vcc, s37, v18
	v_addc_co_u32_e32 v19, vcc, v1, v19, vcc
	s_waitcnt vmcnt(0)
	global_store_dword v[18:19], v5, off
	s_or_b64 exec, exec, s[0:1]
	s_and_saveexec_b64 s[0:1], s[6:7]
	s_cbranch_execz .LBB27_116
.LBB27_132:                             ;   in Loop: Header=BB27_80 Depth=1
	v_lshlrev_b64 v[18:19], 2, v[24:25]
	v_mov_b32_e32 v1, s38
	v_add_co_u32_e32 v18, vcc, s37, v18
	v_addc_co_u32_e32 v19, vcc, v1, v19, vcc
	s_waitcnt vmcnt(0)
	global_store_dword v[18:19], v6, off
	s_or_b64 exec, exec, s[0:1]
	s_and_saveexec_b64 s[0:1], s[8:9]
	s_cbranch_execz .LBB27_117
.LBB27_133:                             ;   in Loop: Header=BB27_80 Depth=1
	v_lshlrev_b64 v[18:19], 2, v[26:27]
	v_mov_b32_e32 v1, s38
	v_add_co_u32_e32 v18, vcc, s37, v18
	v_addc_co_u32_e32 v19, vcc, v1, v19, vcc
	s_waitcnt vmcnt(0)
	global_store_dword v[18:19], v7, off
	s_or_b64 exec, exec, s[0:1]
	s_and_saveexec_b64 s[0:1], s[10:11]
	s_cbranch_execz .LBB27_118
.LBB27_134:                             ;   in Loop: Header=BB27_80 Depth=1
	v_lshlrev_b64 v[18:19], 2, v[28:29]
	v_mov_b32_e32 v1, s38
	v_add_co_u32_e32 v18, vcc, s37, v18
	v_addc_co_u32_e32 v19, vcc, v1, v19, vcc
	s_waitcnt vmcnt(0)
	global_store_dword v[18:19], v8, off
	s_or_b64 exec, exec, s[0:1]
	s_and_saveexec_b64 s[0:1], s[12:13]
	s_cbranch_execz .LBB27_119
.LBB27_135:                             ;   in Loop: Header=BB27_80 Depth=1
	v_lshlrev_b64 v[18:19], 2, v[30:31]
	v_mov_b32_e32 v1, s38
	v_add_co_u32_e32 v18, vcc, s37, v18
	v_addc_co_u32_e32 v19, vcc, v1, v19, vcc
	s_waitcnt vmcnt(0)
	global_store_dword v[18:19], v9, off
	s_or_b64 exec, exec, s[0:1]
	s_and_saveexec_b64 s[0:1], s[14:15]
	s_cbranch_execz .LBB27_120
.LBB27_136:                             ;   in Loop: Header=BB27_80 Depth=1
	v_lshlrev_b64 v[18:19], 2, v[32:33]
	v_mov_b32_e32 v1, s38
	v_add_co_u32_e32 v18, vcc, s37, v18
	v_addc_co_u32_e32 v19, vcc, v1, v19, vcc
	s_waitcnt vmcnt(0)
	global_store_dword v[18:19], v10, off
	s_or_b64 exec, exec, s[0:1]
	s_and_saveexec_b64 s[0:1], s[16:17]
	s_cbranch_execz .LBB27_121
.LBB27_137:                             ;   in Loop: Header=BB27_80 Depth=1
	v_lshlrev_b64 v[18:19], 2, v[34:35]
	v_mov_b32_e32 v1, s38
	v_add_co_u32_e32 v18, vcc, s37, v18
	v_addc_co_u32_e32 v19, vcc, v1, v19, vcc
	s_waitcnt vmcnt(0)
	global_store_dword v[18:19], v11, off
	s_or_b64 exec, exec, s[0:1]
	s_and_saveexec_b64 s[0:1], s[18:19]
	s_cbranch_execz .LBB27_122
.LBB27_138:                             ;   in Loop: Header=BB27_80 Depth=1
	v_lshlrev_b64 v[18:19], 2, v[36:37]
	v_mov_b32_e32 v1, s38
	v_add_co_u32_e32 v18, vcc, s37, v18
	v_addc_co_u32_e32 v19, vcc, v1, v19, vcc
	s_waitcnt vmcnt(0)
	global_store_dword v[18:19], v12, off
	s_or_b64 exec, exec, s[0:1]
	s_and_saveexec_b64 s[0:1], s[20:21]
	s_cbranch_execz .LBB27_123
.LBB27_139:                             ;   in Loop: Header=BB27_80 Depth=1
	v_lshlrev_b64 v[18:19], 2, v[38:39]
	v_mov_b32_e32 v1, s38
	v_add_co_u32_e32 v18, vcc, s37, v18
	v_addc_co_u32_e32 v19, vcc, v1, v19, vcc
	s_waitcnt vmcnt(0)
	global_store_dword v[18:19], v13, off
	s_or_b64 exec, exec, s[0:1]
	s_and_saveexec_b64 s[0:1], s[22:23]
	s_cbranch_execz .LBB27_124
.LBB27_140:                             ;   in Loop: Header=BB27_80 Depth=1
	v_lshlrev_b64 v[18:19], 2, v[40:41]
	v_mov_b32_e32 v1, s38
	v_add_co_u32_e32 v18, vcc, s37, v18
	v_addc_co_u32_e32 v19, vcc, v1, v19, vcc
	s_waitcnt vmcnt(0)
	global_store_dword v[18:19], v14, off
	s_or_b64 exec, exec, s[0:1]
	s_and_saveexec_b64 s[0:1], s[24:25]
	s_cbranch_execz .LBB27_125
.LBB27_141:                             ;   in Loop: Header=BB27_80 Depth=1
	v_lshlrev_b64 v[18:19], 2, v[42:43]
	v_mov_b32_e32 v1, s38
	v_add_co_u32_e32 v18, vcc, s37, v18
	v_addc_co_u32_e32 v19, vcc, v1, v19, vcc
	s_waitcnt vmcnt(0)
	global_store_dword v[18:19], v15, off
	s_or_b64 exec, exec, s[0:1]
	s_and_saveexec_b64 s[0:1], s[26:27]
	s_cbranch_execz .LBB27_126
.LBB27_142:                             ;   in Loop: Header=BB27_80 Depth=1
	v_lshlrev_b64 v[18:19], 2, v[44:45]
	v_mov_b32_e32 v1, s38
	v_add_co_u32_e32 v18, vcc, s37, v18
	v_addc_co_u32_e32 v19, vcc, v1, v19, vcc
	s_waitcnt vmcnt(0)
	global_store_dword v[18:19], v16, off
	s_or_b64 exec, exec, s[0:1]
	s_and_saveexec_b64 s[0:1], s[28:29]
	s_cbranch_execz .LBB27_79
.LBB27_143:                             ;   in Loop: Header=BB27_80 Depth=1
	v_lshlrev_b64 v[18:19], 2, v[46:47]
	v_mov_b32_e32 v1, s38
	v_add_co_u32_e32 v18, vcc, s37, v18
	v_addc_co_u32_e32 v19, vcc, v1, v19, vcc
	s_waitcnt vmcnt(0)
	global_store_dword v[18:19], v17, off
	s_branch .LBB27_79
.LBB27_144:
	s_endpgm
	.section	.rodata,"a",@progbits
	.p2align	6, 0x0
	.amdhsa_kernel _ZN9rocsolver6v33100L10stedc_sortIffPfS2_EEviPT0_lS4_lT1_iilT2_iil
		.amdhsa_group_segment_fixed_size 2048
		.amdhsa_private_segment_fixed_size 0
		.amdhsa_kernarg_size 344
		.amdhsa_user_sgpr_count 6
		.amdhsa_user_sgpr_private_segment_buffer 1
		.amdhsa_user_sgpr_dispatch_ptr 0
		.amdhsa_user_sgpr_queue_ptr 0
		.amdhsa_user_sgpr_kernarg_segment_ptr 1
		.amdhsa_user_sgpr_dispatch_id 0
		.amdhsa_user_sgpr_flat_scratch_init 0
		.amdhsa_user_sgpr_private_segment_size 0
		.amdhsa_uses_dynamic_stack 0
		.amdhsa_system_sgpr_private_segment_wavefront_offset 0
		.amdhsa_system_sgpr_workgroup_id_x 1
		.amdhsa_system_sgpr_workgroup_id_y 1
		.amdhsa_system_sgpr_workgroup_id_z 0
		.amdhsa_system_sgpr_workgroup_info 0
		.amdhsa_system_vgpr_workitem_id 0
		.amdhsa_next_free_vgpr 50
		.amdhsa_next_free_sgpr 72
		.amdhsa_reserve_vcc 1
		.amdhsa_reserve_flat_scratch 0
		.amdhsa_float_round_mode_32 0
		.amdhsa_float_round_mode_16_64 0
		.amdhsa_float_denorm_mode_32 3
		.amdhsa_float_denorm_mode_16_64 3
		.amdhsa_dx10_clamp 1
		.amdhsa_ieee_mode 1
		.amdhsa_fp16_overflow 0
		.amdhsa_exception_fp_ieee_invalid_op 0
		.amdhsa_exception_fp_denorm_src 0
		.amdhsa_exception_fp_ieee_div_zero 0
		.amdhsa_exception_fp_ieee_overflow 0
		.amdhsa_exception_fp_ieee_underflow 0
		.amdhsa_exception_fp_ieee_inexact 0
		.amdhsa_exception_int_div_zero 0
	.end_amdhsa_kernel
	.section	.text._ZN9rocsolver6v33100L10stedc_sortIffPfS2_EEviPT0_lS4_lT1_iilT2_iil,"axG",@progbits,_ZN9rocsolver6v33100L10stedc_sortIffPfS2_EEviPT0_lS4_lT1_iilT2_iil,comdat
.Lfunc_end27:
	.size	_ZN9rocsolver6v33100L10stedc_sortIffPfS2_EEviPT0_lS4_lT1_iilT2_iil, .Lfunc_end27-_ZN9rocsolver6v33100L10stedc_sortIffPfS2_EEviPT0_lS4_lT1_iilT2_iil
                                        ; -- End function
	.set _ZN9rocsolver6v33100L10stedc_sortIffPfS2_EEviPT0_lS4_lT1_iilT2_iil.num_vgpr, 50
	.set _ZN9rocsolver6v33100L10stedc_sortIffPfS2_EEviPT0_lS4_lT1_iilT2_iil.num_agpr, 0
	.set _ZN9rocsolver6v33100L10stedc_sortIffPfS2_EEviPT0_lS4_lT1_iilT2_iil.numbered_sgpr, 72
	.set _ZN9rocsolver6v33100L10stedc_sortIffPfS2_EEviPT0_lS4_lT1_iilT2_iil.num_named_barrier, 0
	.set _ZN9rocsolver6v33100L10stedc_sortIffPfS2_EEviPT0_lS4_lT1_iilT2_iil.private_seg_size, 0
	.set _ZN9rocsolver6v33100L10stedc_sortIffPfS2_EEviPT0_lS4_lT1_iilT2_iil.uses_vcc, 1
	.set _ZN9rocsolver6v33100L10stedc_sortIffPfS2_EEviPT0_lS4_lT1_iilT2_iil.uses_flat_scratch, 0
	.set _ZN9rocsolver6v33100L10stedc_sortIffPfS2_EEviPT0_lS4_lT1_iilT2_iil.has_dyn_sized_stack, 0
	.set _ZN9rocsolver6v33100L10stedc_sortIffPfS2_EEviPT0_lS4_lT1_iilT2_iil.has_recursion, 0
	.set _ZN9rocsolver6v33100L10stedc_sortIffPfS2_EEviPT0_lS4_lT1_iilT2_iil.has_indirect_call, 0
	.section	.AMDGPU.csdata,"",@progbits
; Kernel info:
; codeLenInByte = 5344
; TotalNumSgprs: 76
; NumVgprs: 50
; ScratchSize: 0
; MemoryBound: 0
; FloatMode: 240
; IeeeMode: 1
; LDSByteSize: 2048 bytes/workgroup (compile time only)
; SGPRBlocks: 9
; VGPRBlocks: 12
; NumSGPRsForWavesPerEU: 76
; NumVGPRsForWavesPerEU: 50
; Occupancy: 4
; WaveLimiterHint : 0
; COMPUTE_PGM_RSRC2:SCRATCH_EN: 0
; COMPUTE_PGM_RSRC2:USER_SGPR: 6
; COMPUTE_PGM_RSRC2:TRAP_HANDLER: 0
; COMPUTE_PGM_RSRC2:TGID_X_EN: 1
; COMPUTE_PGM_RSRC2:TGID_Y_EN: 1
; COMPUTE_PGM_RSRC2:TGID_Z_EN: 0
; COMPUTE_PGM_RSRC2:TIDIG_COMP_CNT: 0
	.section	.text._ZN9rocsolver6v33100L16reset_batch_infoIdiiPdEEvT2_lT0_T1_,"axG",@progbits,_ZN9rocsolver6v33100L16reset_batch_infoIdiiPdEEvT2_lT0_T1_,comdat
	.globl	_ZN9rocsolver6v33100L16reset_batch_infoIdiiPdEEvT2_lT0_T1_ ; -- Begin function _ZN9rocsolver6v33100L16reset_batch_infoIdiiPdEEvT2_lT0_T1_
	.p2align	8
	.type	_ZN9rocsolver6v33100L16reset_batch_infoIdiiPdEEvT2_lT0_T1_,@function
_ZN9rocsolver6v33100L16reset_batch_infoIdiiPdEEvT2_lT0_T1_: ; @_ZN9rocsolver6v33100L16reset_batch_infoIdiiPdEEvT2_lT0_T1_
; %bb.0:
	s_load_dword s2, s[4:5], 0x24
	s_load_dwordx2 s[0:1], s[4:5], 0x10
	s_waitcnt lgkmcnt(0)
	s_and_b32 s2, s2, 0xffff
	s_mul_i32 s6, s6, s2
	v_add_u32_e32 v0, s6, v0
	v_cmp_gt_i32_e32 vcc, s0, v0
	s_and_saveexec_b64 s[2:3], vcc
	s_cbranch_execz .LBB28_2
; %bb.1:
	s_load_dwordx4 s[8:11], s[4:5], 0x0
	s_ashr_i32 s0, s7, 31
	v_ashrrev_i32_e32 v1, 31, v0
	v_lshlrev_b64 v[0:1], 3, v[0:1]
	v_cvt_f64_i32_e32 v[2:3], s1
	s_waitcnt lgkmcnt(0)
	s_mul_hi_u32 s3, s10, s7
	s_mul_i32 s0, s10, s0
	s_mul_i32 s4, s11, s7
	s_add_i32 s0, s3, s0
	s_mul_i32 s2, s10, s7
	s_add_i32 s3, s0, s4
	s_lshl_b64 s[2:3], s[2:3], 3
	s_add_u32 s0, s8, s2
	s_addc_u32 s2, s9, s3
	v_mov_b32_e32 v4, s2
	v_add_co_u32_e32 v0, vcc, s0, v0
	v_addc_co_u32_e32 v1, vcc, v4, v1, vcc
	global_store_dwordx2 v[0:1], v[2:3], off
.LBB28_2:
	s_endpgm
	.section	.rodata,"a",@progbits
	.p2align	6, 0x0
	.amdhsa_kernel _ZN9rocsolver6v33100L16reset_batch_infoIdiiPdEEvT2_lT0_T1_
		.amdhsa_group_segment_fixed_size 0
		.amdhsa_private_segment_fixed_size 0
		.amdhsa_kernarg_size 280
		.amdhsa_user_sgpr_count 6
		.amdhsa_user_sgpr_private_segment_buffer 1
		.amdhsa_user_sgpr_dispatch_ptr 0
		.amdhsa_user_sgpr_queue_ptr 0
		.amdhsa_user_sgpr_kernarg_segment_ptr 1
		.amdhsa_user_sgpr_dispatch_id 0
		.amdhsa_user_sgpr_flat_scratch_init 0
		.amdhsa_user_sgpr_private_segment_size 0
		.amdhsa_uses_dynamic_stack 0
		.amdhsa_system_sgpr_private_segment_wavefront_offset 0
		.amdhsa_system_sgpr_workgroup_id_x 1
		.amdhsa_system_sgpr_workgroup_id_y 1
		.amdhsa_system_sgpr_workgroup_id_z 0
		.amdhsa_system_sgpr_workgroup_info 0
		.amdhsa_system_vgpr_workitem_id 0
		.amdhsa_next_free_vgpr 5
		.amdhsa_next_free_sgpr 12
		.amdhsa_reserve_vcc 1
		.amdhsa_reserve_flat_scratch 0
		.amdhsa_float_round_mode_32 0
		.amdhsa_float_round_mode_16_64 0
		.amdhsa_float_denorm_mode_32 3
		.amdhsa_float_denorm_mode_16_64 3
		.amdhsa_dx10_clamp 1
		.amdhsa_ieee_mode 1
		.amdhsa_fp16_overflow 0
		.amdhsa_exception_fp_ieee_invalid_op 0
		.amdhsa_exception_fp_denorm_src 0
		.amdhsa_exception_fp_ieee_div_zero 0
		.amdhsa_exception_fp_ieee_overflow 0
		.amdhsa_exception_fp_ieee_underflow 0
		.amdhsa_exception_fp_ieee_inexact 0
		.amdhsa_exception_int_div_zero 0
	.end_amdhsa_kernel
	.section	.text._ZN9rocsolver6v33100L16reset_batch_infoIdiiPdEEvT2_lT0_T1_,"axG",@progbits,_ZN9rocsolver6v33100L16reset_batch_infoIdiiPdEEvT2_lT0_T1_,comdat
.Lfunc_end28:
	.size	_ZN9rocsolver6v33100L16reset_batch_infoIdiiPdEEvT2_lT0_T1_, .Lfunc_end28-_ZN9rocsolver6v33100L16reset_batch_infoIdiiPdEEvT2_lT0_T1_
                                        ; -- End function
	.set _ZN9rocsolver6v33100L16reset_batch_infoIdiiPdEEvT2_lT0_T1_.num_vgpr, 5
	.set _ZN9rocsolver6v33100L16reset_batch_infoIdiiPdEEvT2_lT0_T1_.num_agpr, 0
	.set _ZN9rocsolver6v33100L16reset_batch_infoIdiiPdEEvT2_lT0_T1_.numbered_sgpr, 12
	.set _ZN9rocsolver6v33100L16reset_batch_infoIdiiPdEEvT2_lT0_T1_.num_named_barrier, 0
	.set _ZN9rocsolver6v33100L16reset_batch_infoIdiiPdEEvT2_lT0_T1_.private_seg_size, 0
	.set _ZN9rocsolver6v33100L16reset_batch_infoIdiiPdEEvT2_lT0_T1_.uses_vcc, 1
	.set _ZN9rocsolver6v33100L16reset_batch_infoIdiiPdEEvT2_lT0_T1_.uses_flat_scratch, 0
	.set _ZN9rocsolver6v33100L16reset_batch_infoIdiiPdEEvT2_lT0_T1_.has_dyn_sized_stack, 0
	.set _ZN9rocsolver6v33100L16reset_batch_infoIdiiPdEEvT2_lT0_T1_.has_recursion, 0
	.set _ZN9rocsolver6v33100L16reset_batch_infoIdiiPdEEvT2_lT0_T1_.has_indirect_call, 0
	.section	.AMDGPU.csdata,"",@progbits
; Kernel info:
; codeLenInByte = 140
; TotalNumSgprs: 16
; NumVgprs: 5
; ScratchSize: 0
; MemoryBound: 0
; FloatMode: 240
; IeeeMode: 1
; LDSByteSize: 0 bytes/workgroup (compile time only)
; SGPRBlocks: 1
; VGPRBlocks: 1
; NumSGPRsForWavesPerEU: 16
; NumVGPRsForWavesPerEU: 5
; Occupancy: 10
; WaveLimiterHint : 0
; COMPUTE_PGM_RSRC2:SCRATCH_EN: 0
; COMPUTE_PGM_RSRC2:USER_SGPR: 6
; COMPUTE_PGM_RSRC2:TRAP_HANDLER: 0
; COMPUTE_PGM_RSRC2:TGID_X_EN: 1
; COMPUTE_PGM_RSRC2:TGID_Y_EN: 1
; COMPUTE_PGM_RSRC2:TGID_Z_EN: 0
; COMPUTE_PGM_RSRC2:TIDIG_COMP_CNT: 0
	.section	.text._ZN9rocsolver6v33100L12sterf_kernelIdEEviPT_lS3_lPiS4_iS2_S2_S2_,"axG",@progbits,_ZN9rocsolver6v33100L12sterf_kernelIdEEviPT_lS3_lPiS4_iS2_S2_S2_,comdat
	.globl	_ZN9rocsolver6v33100L12sterf_kernelIdEEviPT_lS3_lPiS4_iS2_S2_S2_ ; -- Begin function _ZN9rocsolver6v33100L12sterf_kernelIdEEviPT_lS3_lPiS4_iS2_S2_S2_
	.p2align	8
	.type	_ZN9rocsolver6v33100L12sterf_kernelIdEEviPT_lS3_lPiS4_iS2_S2_S2_,@function
_ZN9rocsolver6v33100L12sterf_kernelIdEEviPT_lS3_lPiS4_iS2_S2_S2_: ; @_ZN9rocsolver6v33100L12sterf_kernelIdEEviPT_lS3_lPiS4_iS2_S2_S2_
; %bb.0:
	s_load_dwordx8 s[12:19], s[4:5], 0x8
	s_load_dword s33, s[4:5], 0x0
	s_load_dword s60, s[4:5], 0x38
	s_ashr_i32 s7, s6, 31
	s_waitcnt lgkmcnt(0)
	s_mul_hi_u32 s0, s14, s6
	s_mul_i32 s1, s14, s7
	s_add_i32 s0, s0, s1
	s_mul_i32 s1, s15, s6
	s_add_i32 s1, s0, s1
	s_mul_i32 s0, s14, s6
	s_lshl_b64 s[10:11], s[0:1], 3
	s_add_u32 s58, s12, s10
	s_mul_hi_u32 s0, s18, s6
	s_mul_i32 s1, s18, s7
	s_addc_u32 s59, s13, s11
	s_add_i32 s0, s0, s1
	s_mul_i32 s1, s19, s6
	s_add_i32 s1, s0, s1
	s_mul_i32 s0, s18, s6
	s_lshl_b64 s[0:1], s[0:1], 3
	s_add_u32 s14, s16, s0
	s_addc_u32 s15, s17, s1
	s_min_i32 s2, s33, s60
	s_cmp_lt_i32 s2, 1
	s_cbranch_scc1 .LBB29_148
; %bb.1:
	s_load_dwordx4 s[20:23], s[4:5], 0x40
	s_load_dwordx2 s[18:19], s[4:5], 0x50
	s_add_i32 s61, s33, -1
	s_add_u32 s62, s16, s0
	s_addc_u32 s63, s17, s1
	s_waitcnt lgkmcnt(0)
	v_mul_f64 v[0:1], s[20:21], s[20:21]
	s_add_u32 s64, s62, -8
	s_addc_u32 s65, s63, -1
	s_add_u32 s66, s12, s10
	s_addc_u32 s67, s13, s11
	s_add_u32 s68, s66, 8
	s_addc_u32 s69, s67, 0
	s_add_u32 s70, s62, 8
	s_mov_b32 s16, 0
	s_mov_b32 s24, 0x667f3bcd
	s_addc_u32 s71, s63, 0
	s_mov_b32 s72, 0
	v_mov_b32_e32 v2, 0
	s_brev_b32 s17, 8
	v_mov_b32_e32 v24, 0x260
	s_mov_b32 s25, 0x3ff6a09e
	s_mov_b32 s27, 0
	s_mov_b32 s73, 0
	s_branch .LBB29_3
.LBB29_2:                               ;   in Loop: Header=BB29_3 Depth=1
	s_andn2_b64 vcc, exec, s[8:9]
	s_cbranch_vccz .LBB29_20
.LBB29_3:                               ; =>This Loop Header: Depth=1
                                        ;     Child Loop BB29_7 Depth 2
                                        ;     Child Loop BB29_14 Depth 2
	;; [unrolled: 1-line block ×6, first 2 shown]
                                        ;       Child Loop BB29_56 Depth 3
                                        ;       Child Loop BB29_68 Depth 3
                                        ;     Child Loop BB29_102 Depth 2
                                        ;       Child Loop BB29_104 Depth 3
                                        ;       Child Loop BB29_117 Depth 3
                                        ;     Child Loop BB29_46 Depth 2
                                        ;     Child Loop BB29_50 Depth 2
	s_mov_b32 s26, s27
	s_cmp_lt_i32 s27, 1
	s_cbranch_scc1 .LBB29_5
; %bb.4:                                ;   in Loop: Header=BB29_3 Depth=1
	s_mov_b32 s27, s72
	s_lshl_b64 s[0:1], s[26:27], 3
	s_add_u32 s0, s14, s0
	s_addc_u32 s1, s15, s1
	v_mov_b32_e32 v3, v2
	global_store_dwordx2 v2, v[2:3], s[0:1] offset:-8
.LBB29_5:                               ;   in Loop: Header=BB29_3 Depth=1
	s_ashr_i32 s27, s26, 31
	s_lshl_b64 s[30:31], s[26:27], 3
	s_add_u32 s0, s64, s30
	s_addc_u32 s1, s65, s31
	s_add_u32 s2, s68, s30
	s_addc_u32 s3, s69, s31
	s_mov_b32 s28, s26
	s_mov_b64 s[8:9], -1
	s_cmp_ge_i32 s28, s61
	s_mov_b64 s[34:35], -1
                                        ; implicit-def: $sgpr27
	s_cbranch_scc1 .LBB29_7
.LBB29_6:                               ;   in Loop: Header=BB29_3 Depth=1
	global_load_dwordx4 v[3:6], v2, s[2:3] offset:-8
	global_load_dwordx2 v[7:8], v2, s[0:1] offset:8
	s_add_u32 s36, s0, 8
	s_addc_u32 s37, s1, 0
	s_waitcnt vmcnt(1)
	v_cmp_lt_f64_e64 s[8:9], |v[3:4]|, s[16:17]
	v_cmp_lt_f64_e64 s[34:35], |v[5:6]|, s[16:17]
	s_and_b64 s[0:1], s[8:9], exec
	s_cselect_b32 s0, 0x100, 0
	s_cselect_b32 s8, 0xffffff80, 0
	s_add_i32 s27, s28, 1
	v_ldexp_f64 v[3:4], |v[3:4]|, s0
	s_and_b64 s[0:1], s[34:35], exec
	s_cselect_b32 s0, 0x100, 0
	v_ldexp_f64 v[5:6], |v[5:6]|, s0
	s_cselect_b32 s0, 0xffffff80, 0
	s_add_u32 s2, s2, 8
	s_addc_u32 s3, s3, 0
	v_rsq_f64_e32 v[9:10], v[3:4]
	v_cmp_class_f64_e32 vcc, v[3:4], v24
	v_rsq_f64_e32 v[11:12], v[5:6]
	v_mul_f64 v[13:14], v[3:4], v[9:10]
	v_mul_f64 v[9:10], v[9:10], 0.5
	v_mul_f64 v[15:16], v[5:6], v[11:12]
	v_mul_f64 v[11:12], v[11:12], 0.5
	v_fma_f64 v[17:18], -v[9:10], v[13:14], 0.5
	v_fma_f64 v[19:20], -v[11:12], v[15:16], 0.5
	v_fma_f64 v[13:14], v[13:14], v[17:18], v[13:14]
	v_fma_f64 v[9:10], v[9:10], v[17:18], v[9:10]
	;; [unrolled: 1-line block ×4, first 2 shown]
	v_fma_f64 v[17:18], -v[13:14], v[13:14], v[3:4]
	v_fma_f64 v[19:20], -v[15:16], v[15:16], v[5:6]
	v_fma_f64 v[13:14], v[17:18], v[9:10], v[13:14]
	v_fma_f64 v[15:16], v[19:20], v[11:12], v[15:16]
	v_fma_f64 v[17:18], -v[13:14], v[13:14], v[3:4]
	v_fma_f64 v[19:20], -v[15:16], v[15:16], v[5:6]
	v_fma_f64 v[9:10], v[17:18], v[9:10], v[13:14]
	v_fma_f64 v[11:12], v[19:20], v[11:12], v[15:16]
	v_ldexp_f64 v[9:10], v[9:10], s8
	s_mov_b64 s[8:9], 0
	v_ldexp_f64 v[11:12], v[11:12], s0
	v_cmp_class_f64_e64 s[0:1], v[5:6], v24
	v_cndmask_b32_e32 v4, v10, v4, vcc
	v_cndmask_b32_e32 v3, v9, v3, vcc
	v_cndmask_b32_e64 v6, v12, v6, s[0:1]
	v_cndmask_b32_e64 v5, v11, v5, s[0:1]
	v_mul_f64 v[3:4], v[3:4], v[5:6]
	s_mov_b64 s[0:1], s[36:37]
	v_mul_f64 v[3:4], s[20:21], v[3:4]
	s_waitcnt vmcnt(0)
	v_cmp_le_f64_e64 s[34:35], |v[7:8]|, v[3:4]
.LBB29_7:                               ;   Parent Loop BB29_3 Depth=1
                                        ; =>  This Inner Loop Header: Depth=2
	s_andn2_b64 vcc, exec, s[34:35]
	s_cbranch_vccz .LBB29_9
; %bb.8:                                ;   in Loop: Header=BB29_7 Depth=2
	s_mov_b32 s28, s27
	s_mov_b64 s[8:9], -1
	s_cmp_ge_i32 s28, s61
	s_mov_b64 s[34:35], -1
                                        ; implicit-def: $sgpr27
	s_cbranch_scc0 .LBB29_6
	s_branch .LBB29_7
.LBB29_9:                               ;   in Loop: Header=BB29_3 Depth=1
	s_andn2_b64 vcc, exec, s[8:9]
	s_mov_b64 s[2:3], -1
	s_cbranch_vccnz .LBB29_16
; %bb.10:                               ;   in Loop: Header=BB29_3 Depth=1
	s_andn2_b64 vcc, exec, s[2:3]
	s_cbranch_vccz .LBB29_17
.LBB29_11:                              ;   in Loop: Header=BB29_3 Depth=1
	s_cmp_lg_u32 s28, s26
	s_mov_b64 s[2:3], -1
	s_cbranch_scc0 .LBB29_18
.LBB29_12:                              ;   in Loop: Header=BB29_3 Depth=1
	s_ashr_i32 s29, s28, 31
	s_lshl_b64 s[0:1], s[28:29], 3
	s_add_u32 s34, s58, s0
	s_addc_u32 s35, s59, s1
	global_load_dwordx2 v[6:7], v2, s[34:35]
	s_cmp_lt_i32 s26, s28
	s_cselect_b64 s[0:1], -1, 0
	s_cmp_ge_i32 s26, s28
	s_waitcnt vmcnt(0)
	v_and_b32_e32 v5, 0x7fffffff, v7
	v_mov_b32_e32 v4, v6
	s_cbranch_scc1 .LBB29_15
; %bb.13:                               ;   in Loop: Header=BB29_3 Depth=1
	s_add_u32 s8, s66, s30
	s_addc_u32 s9, s67, s31
	s_add_u32 s36, s62, s30
	s_addc_u32 s37, s63, s31
	s_mov_b32 s29, s26
.LBB29_14:                              ;   Parent Loop BB29_3 Depth=1
                                        ; =>  This Inner Loop Header: Depth=2
	global_load_dwordx2 v[8:9], v2, s[36:37]
	global_load_dwordx2 v[10:11], v2, s[8:9]
	v_max_f64 v[3:4], v[4:5], v[4:5]
	s_add_i32 s29, s29, 1
	s_add_u32 s8, s8, 8
	s_addc_u32 s9, s9, 0
	s_add_u32 s36, s36, 8
	s_addc_u32 s37, s37, 0
	s_cmp_lt_i32 s29, s28
	s_waitcnt vmcnt(1)
	v_max_f64 v[8:9], |v[8:9]|, |v[8:9]|
	s_waitcnt vmcnt(0)
	v_max_f64 v[10:11], |v[10:11]|, |v[10:11]|
	v_max_f64 v[8:9], v[10:11], v[8:9]
	v_max_f64 v[4:5], v[3:4], v[8:9]
	s_cbranch_scc1 .LBB29_14
.LBB29_15:                              ;   in Loop: Header=BB29_3 Depth=1
	v_cmp_eq_f64_e64 s[8:9], 0, v[4:5]
	s_and_b64 vcc, exec, s[8:9]
	s_mov_b64 s[8:9], -1
	s_cbranch_vccz .LBB29_2
	s_branch .LBB29_19
.LBB29_16:                              ;   in Loop: Header=BB29_3 Depth=1
	v_mov_b32_e32 v3, v2
	global_store_dwordx2 v2, v[2:3], s[0:1]
	s_cbranch_execnz .LBB29_11
.LBB29_17:                              ;   in Loop: Header=BB29_3 Depth=1
	s_max_i32 s28, s26, s61
	s_add_i32 s27, s28, 1
	s_cmp_lg_u32 s28, s26
	s_mov_b64 s[2:3], -1
	s_cbranch_scc1 .LBB29_12
.LBB29_18:                              ;   in Loop: Header=BB29_3 Depth=1
                                        ; implicit-def: $sgpr34_sgpr35
                                        ; implicit-def: $vgpr6_vgpr7
                                        ; implicit-def: $sgpr0_sgpr1
                                        ; implicit-def: $vgpr4_vgpr5
	s_mov_b64 s[8:9], -1
	s_cbranch_execz .LBB29_2
.LBB29_19:                              ;   in Loop: Header=BB29_3 Depth=1
	s_cmp_ge_i32 s27, s33
	s_mov_b64 s[2:3], 0
	s_cselect_b64 s[8:9], -1, 0
	s_branch .LBB29_2
.LBB29_20:                              ;   in Loop: Header=BB29_3 Depth=1
	s_mov_b64 s[8:9], -1
	s_and_b64 vcc, exec, s[2:3]
                                        ; implicit-def: $sgpr37
	s_cbranch_vccz .LBB29_52
; %bb.21:                               ;   in Loop: Header=BB29_3 Depth=1
	v_cmp_nlt_f64_e32 vcc, s[18:19], v[4:5]
	s_cbranch_vccz .LBB29_27
; %bb.22:                               ;   in Loop: Header=BB29_3 Depth=1
	v_cmp_gt_f64_e32 vcc, s[22:23], v[4:5]
	s_mov_b64 s[2:3], -1
	s_cbranch_vccz .LBB29_28
; %bb.23:                               ;   in Loop: Header=BB29_3 Depth=1
	v_div_scale_f64 v[8:9], s[2:3], s[22:23], s[22:23], v[4:5]
	s_mov_b64 s[2:3], 0
	v_rcp_f64_e32 v[10:11], v[8:9]
	v_fma_f64 v[12:13], -v[8:9], v[10:11], 1.0
	v_fma_f64 v[10:11], v[10:11], v[12:13], v[10:11]
	v_div_scale_f64 v[12:13], vcc, v[4:5], s[22:23], v[4:5]
	v_fma_f64 v[14:15], -v[8:9], v[10:11], 1.0
	v_fma_f64 v[10:11], v[10:11], v[14:15], v[10:11]
	v_mul_f64 v[14:15], v[12:13], v[10:11]
	v_fma_f64 v[8:9], -v[8:9], v[14:15], v[12:13]
	v_div_fmas_f64 v[8:9], v[8:9], v[10:11], v[14:15]
	s_and_b64 vcc, exec, s[0:1]
	v_div_fixup_f64 v[8:9], v[8:9], s[22:23], v[4:5]
	s_waitcnt vmcnt(0)
	v_mul_f64 v[10:11], v[6:7], v[8:9]
	global_store_dwordx2 v2, v[10:11], s[34:35]
	s_cbranch_vccz .LBB29_28
; %bb.24:                               ;   in Loop: Header=BB29_3 Depth=1
	s_add_u32 s2, s66, s30
	s_addc_u32 s3, s67, s31
	s_add_u32 s8, s62, s30
	s_addc_u32 s9, s63, s31
	s_mov_b32 s29, s26
.LBB29_25:                              ;   Parent Loop BB29_3 Depth=1
                                        ; =>  This Inner Loop Header: Depth=2
	global_load_dwordx2 v[10:11], v2, s[2:3]
	s_add_i32 s29, s29, 1
	s_waitcnt vmcnt(0)
	v_mul_f64 v[10:11], v[8:9], v[10:11]
	global_store_dwordx2 v2, v[10:11], s[2:3]
	global_load_dwordx2 v[10:11], v2, s[8:9]
	s_add_u32 s2, s2, 8
	s_addc_u32 s3, s3, 0
	s_waitcnt vmcnt(0)
	v_mul_f64 v[10:11], v[8:9], v[10:11]
	global_store_dwordx2 v2, v[10:11], s[8:9]
	s_add_u32 s8, s8, 8
	s_addc_u32 s9, s9, 0
	s_cmp_lt_i32 s29, s28
	s_cbranch_scc1 .LBB29_25
; %bb.26:                               ;   in Loop: Header=BB29_3 Depth=1
	s_mov_b64 s[2:3], -1
	s_branch .LBB29_33
.LBB29_27:                              ;   in Loop: Header=BB29_3 Depth=1
	s_mov_b64 s[2:3], 0
	s_and_b64 vcc, exec, s[8:9]
	s_cbranch_vccnz .LBB29_29
	s_branch .LBB29_33
.LBB29_28:                              ;   in Loop: Header=BB29_3 Depth=1
	s_branch .LBB29_33
.LBB29_29:                              ;   in Loop: Header=BB29_3 Depth=1
	v_div_scale_f64 v[8:9], s[8:9], s[18:19], s[18:19], v[4:5]
	v_rcp_f64_e32 v[10:11], v[8:9]
	v_fma_f64 v[12:13], -v[8:9], v[10:11], 1.0
	v_fma_f64 v[10:11], v[10:11], v[12:13], v[10:11]
	v_div_scale_f64 v[12:13], vcc, v[4:5], s[18:19], v[4:5]
	v_fma_f64 v[14:15], -v[8:9], v[10:11], 1.0
	v_fma_f64 v[10:11], v[10:11], v[14:15], v[10:11]
	v_mul_f64 v[14:15], v[12:13], v[10:11]
	v_fma_f64 v[8:9], -v[8:9], v[14:15], v[12:13]
	v_div_fmas_f64 v[8:9], v[8:9], v[10:11], v[14:15]
	s_and_b64 vcc, exec, s[0:1]
	v_div_fixup_f64 v[8:9], v[8:9], s[18:19], v[4:5]
	s_waitcnt vmcnt(0)
	v_mul_f64 v[6:7], v[6:7], v[8:9]
	global_store_dwordx2 v2, v[6:7], s[34:35]
	s_cbranch_vccz .LBB29_33
; %bb.30:                               ;   in Loop: Header=BB29_3 Depth=1
	s_add_u32 s2, s66, s30
	s_addc_u32 s3, s67, s31
	s_add_u32 s8, s62, s30
	s_addc_u32 s9, s63, s31
	s_mov_b32 s29, s26
.LBB29_31:                              ;   Parent Loop BB29_3 Depth=1
                                        ; =>  This Inner Loop Header: Depth=2
	global_load_dwordx2 v[6:7], v2, s[2:3]
	s_add_i32 s29, s29, 1
	s_waitcnt vmcnt(0)
	v_mul_f64 v[6:7], v[8:9], v[6:7]
	global_store_dwordx2 v2, v[6:7], s[2:3]
	global_load_dwordx2 v[6:7], v2, s[8:9]
	s_add_u32 s2, s2, 8
	s_addc_u32 s3, s3, 0
	s_waitcnt vmcnt(0)
	v_mul_f64 v[6:7], v[8:9], v[6:7]
	global_store_dwordx2 v2, v[6:7], s[8:9]
	s_add_u32 s8, s8, 8
	s_addc_u32 s9, s9, 0
	s_cmp_ge_i32 s29, s28
	s_cbranch_scc0 .LBB29_31
; %bb.32:                               ;   in Loop: Header=BB29_3 Depth=1
	s_mov_b64 s[2:3], -1
.LBB29_33:                              ;   in Loop: Header=BB29_3 Depth=1
	v_cndmask_b32_e64 v3, 0, 1, s[0:1]
	s_and_b64 vcc, exec, s[2:3]
	v_cmp_ne_u32_e64 s[0:1], 1, v3
	s_cbranch_vccz .LBB29_37
; %bb.34:                               ;   in Loop: Header=BB29_3 Depth=1
	s_and_b64 vcc, exec, s[0:1]
	s_cbranch_vccnz .LBB29_37
; %bb.35:                               ;   in Loop: Header=BB29_3 Depth=1
	s_add_u32 s2, s62, s30
	s_addc_u32 s3, s63, s31
	s_mov_b32 s8, s26
.LBB29_36:                              ;   Parent Loop BB29_3 Depth=1
                                        ; =>  This Inner Loop Header: Depth=2
	global_load_dwordx2 v[6:7], v2, s[2:3]
	s_add_i32 s8, s8, 1
	s_waitcnt vmcnt(0)
	v_mul_f64 v[6:7], v[6:7], v[6:7]
	global_store_dwordx2 v2, v[6:7], s[2:3]
	s_add_u32 s2, s2, 8
	s_addc_u32 s3, s3, 0
	s_cmp_lt_i32 s8, s28
	s_cbranch_scc1 .LBB29_36
.LBB29_37:                              ;   in Loop: Header=BB29_3 Depth=1
	s_add_u32 s2, s58, s30
	s_addc_u32 s3, s59, s31
	global_load_dwordx2 v[6:7], v2, s[34:35]
	global_load_dwordx2 v[8:9], v2, s[2:3]
	s_mov_b64 s[8:9], -1
                                        ; implicit-def: $sgpr37
	s_waitcnt vmcnt(0)
	v_cmp_lt_f64_e64 s[2:3], |v[6:7]|, |v[8:9]|
	s_and_b64 s[2:3], s[2:3], exec
	s_cselect_b32 s29, s26, s28
	s_cselect_b32 s36, s28, s26
	s_cmp_lt_i32 s73, s60
	s_cselect_b64 s[2:3], -1, 0
	v_cndmask_b32_e64 v3, 0, 1, s[2:3]
	s_cmp_lt_i32 s29, s36
	v_cmp_ne_u32_e64 s[2:3], 1, v3
	s_cbranch_scc0 .LBB29_40
; %bb.38:                               ;   in Loop: Header=BB29_3 Depth=1
	s_andn2_b64 vcc, exec, s[8:9]
	s_cbranch_vccz .LBB29_42
.LBB29_39:                              ;   in Loop: Header=BB29_3 Depth=1
	v_cmp_lt_f64_e32 vcc, s[18:19], v[4:5]
	s_andn2_b64 vcc, exec, vcc
	s_cbranch_vccz .LBB29_44
	s_branch .LBB29_47
.LBB29_40:                              ;   in Loop: Header=BB29_3 Depth=1
	s_and_b64 vcc, exec, s[2:3]
	s_mov_b32 s37, s73
	s_mov_b32 s38, s36
	s_cbranch_vccz .LBB29_54
.LBB29_41:                              ;   in Loop: Header=BB29_3 Depth=1
	s_cbranch_execnz .LBB29_39
.LBB29_42:                              ;   in Loop: Header=BB29_3 Depth=1
	s_and_b64 vcc, exec, s[2:3]
	s_cbranch_vccz .LBB29_102
.LBB29_43:                              ;   in Loop: Header=BB29_3 Depth=1
	s_mov_b32 s37, s73
	v_cmp_lt_f64_e32 vcc, s[18:19], v[4:5]
	s_andn2_b64 vcc, exec, vcc
	s_cbranch_vccnz .LBB29_47
.LBB29_44:                              ;   in Loop: Header=BB29_3 Depth=1
	s_waitcnt vmcnt(0)
	v_div_scale_f64 v[6:7], s[2:3], v[4:5], v[4:5], s[18:19]
	global_load_dwordx2 v[10:11], v2, s[34:35]
	v_div_scale_f64 v[14:15], vcc, s[18:19], v[4:5], s[18:19]
	v_rcp_f64_e32 v[8:9], v[6:7]
	v_fma_f64 v[12:13], -v[6:7], v[8:9], 1.0
	v_fma_f64 v[8:9], v[8:9], v[12:13], v[8:9]
	v_fma_f64 v[12:13], -v[6:7], v[8:9], 1.0
	v_fma_f64 v[8:9], v[8:9], v[12:13], v[8:9]
	v_mul_f64 v[12:13], v[14:15], v[8:9]
	v_fma_f64 v[6:7], -v[6:7], v[12:13], v[14:15]
	v_div_fmas_f64 v[6:7], v[6:7], v[8:9], v[12:13]
	s_and_b64 vcc, exec, s[0:1]
	v_div_fixup_f64 v[6:7], v[6:7], v[4:5], s[18:19]
	s_waitcnt vmcnt(0)
	v_mul_f64 v[8:9], v[6:7], v[10:11]
	global_store_dwordx2 v2, v[8:9], s[34:35]
	s_cbranch_vccnz .LBB29_47
; %bb.45:                               ;   in Loop: Header=BB29_3 Depth=1
	s_add_u32 s2, s66, s30
	s_addc_u32 s3, s67, s31
	s_add_u32 s8, s62, s30
	s_addc_u32 s9, s63, s31
	s_mov_b32 s29, s26
.LBB29_46:                              ;   Parent Loop BB29_3 Depth=1
                                        ; =>  This Inner Loop Header: Depth=2
	global_load_dwordx2 v[8:9], v2, s[2:3]
	s_add_i32 s29, s29, 1
	s_waitcnt vmcnt(0)
	v_mul_f64 v[8:9], v[6:7], v[8:9]
	global_store_dwordx2 v2, v[8:9], s[2:3]
	global_load_dwordx2 v[8:9], v2, s[8:9]
	s_add_u32 s2, s2, 8
	s_addc_u32 s3, s3, 0
	s_waitcnt vmcnt(0)
	v_mul_f64 v[8:9], v[6:7], v[8:9]
	global_store_dwordx2 v2, v[8:9], s[8:9]
	s_add_u32 s8, s8, 8
	s_addc_u32 s9, s9, 0
	s_cmp_lt_i32 s29, s28
	s_cbranch_scc1 .LBB29_46
.LBB29_47:                              ;   in Loop: Header=BB29_3 Depth=1
	v_cmp_ngt_f64_e32 vcc, s[22:23], v[4:5]
	s_cbranch_vccnz .LBB29_51
; %bb.48:                               ;   in Loop: Header=BB29_3 Depth=1
	s_waitcnt vmcnt(0)
	v_div_scale_f64 v[6:7], s[2:3], v[4:5], v[4:5], s[22:23]
	global_load_dwordx2 v[10:11], v2, s[34:35]
	v_div_scale_f64 v[14:15], vcc, s[22:23], v[4:5], s[22:23]
	v_rcp_f64_e32 v[8:9], v[6:7]
	v_fma_f64 v[12:13], -v[6:7], v[8:9], 1.0
	v_fma_f64 v[8:9], v[8:9], v[12:13], v[8:9]
	v_fma_f64 v[12:13], -v[6:7], v[8:9], 1.0
	v_fma_f64 v[8:9], v[8:9], v[12:13], v[8:9]
	v_mul_f64 v[12:13], v[14:15], v[8:9]
	v_fma_f64 v[6:7], -v[6:7], v[12:13], v[14:15]
	v_div_fmas_f64 v[6:7], v[6:7], v[8:9], v[12:13]
	s_and_b64 vcc, exec, s[0:1]
	v_div_fixup_f64 v[3:4], v[6:7], v[4:5], s[22:23]
	s_waitcnt vmcnt(0)
	v_mul_f64 v[5:6], v[3:4], v[10:11]
	global_store_dwordx2 v2, v[5:6], s[34:35]
	s_cbranch_vccnz .LBB29_51
; %bb.49:                               ;   in Loop: Header=BB29_3 Depth=1
	s_add_u32 s0, s66, s30
	s_addc_u32 s1, s67, s31
	s_add_u32 s2, s62, s30
	s_addc_u32 s3, s63, s31
.LBB29_50:                              ;   Parent Loop BB29_3 Depth=1
                                        ; =>  This Inner Loop Header: Depth=2
	global_load_dwordx2 v[5:6], v2, s[0:1]
	s_add_i32 s26, s26, 1
	s_waitcnt vmcnt(0)
	v_mul_f64 v[5:6], v[3:4], v[5:6]
	global_store_dwordx2 v2, v[5:6], s[0:1]
	global_load_dwordx2 v[5:6], v2, s[2:3]
	s_add_u32 s0, s0, 8
	s_addc_u32 s1, s1, 0
	s_waitcnt vmcnt(0)
	v_mul_f64 v[5:6], v[3:4], v[5:6]
	global_store_dwordx2 v2, v[5:6], s[2:3]
	s_add_u32 s2, s2, 8
	s_addc_u32 s3, s3, 0
	s_cmp_lt_i32 s26, s28
	s_cbranch_scc1 .LBB29_50
.LBB29_51:                              ;   in Loop: Header=BB29_3 Depth=1
	s_cmp_ge_i32 s37, s60
	s_cselect_b64 s[0:1], -1, 0
	s_cmp_ge_i32 s27, s33
	s_cselect_b64 s[2:3], -1, 0
	s_or_b64 s[8:9], s[2:3], s[0:1]
.LBB29_52:                              ;   in Loop: Header=BB29_3 Depth=1
	s_and_b64 vcc, exec, s[8:9]
	s_mov_b32 s73, s37
	s_cbranch_vccz .LBB29_3
	s_branch .LBB29_148
.LBB29_53:                              ;   in Loop: Header=BB29_54 Depth=2
	s_andn2_b64 vcc, exec, s[40:41]
	s_cbranch_vccz .LBB29_41
.LBB29_54:                              ;   Parent Loop BB29_3 Depth=1
                                        ; =>  This Loop Header: Depth=2
                                        ;       Child Loop BB29_56 Depth 3
                                        ;       Child Loop BB29_68 Depth 3
	s_ashr_i32 s39, s38, 31
	s_max_i32 s8, s29, s38
	s_lshl_b64 s[44:45], s[38:39], 3
	s_add_u32 s40, s64, s44
	s_addc_u32 s41, s65, s45
	s_add_u32 s42, s68, s44
	s_addc_u32 s43, s69, s45
	s_mov_b32 s9, s38
	s_mov_b64 s[46:47], -1
	s_cmp_ge_i32 s9, s29
	s_mov_b64 s[48:49], -1
                                        ; implicit-def: $sgpr39
	s_cbranch_scc1 .LBB29_56
.LBB29_55:                              ;   in Loop: Header=BB29_54 Depth=2
	global_load_dwordx4 v[6:9], v2, s[42:43] offset:-8
	global_load_dwordx2 v[10:11], v2, s[40:41] offset:8
	s_add_u32 s40, s40, 8
	s_addc_u32 s41, s41, 0
	s_add_i32 s39, s9, 1
	s_add_u32 s42, s42, 8
	s_addc_u32 s43, s43, 0
	s_mov_b64 s[46:47], 0
	s_waitcnt vmcnt(1)
	v_mul_f64 v[6:7], v[6:7], v[8:9]
	v_mul_f64 v[6:7], v[0:1], |v[6:7]|
	s_waitcnt vmcnt(0)
	v_cmp_le_f64_e64 s[48:49], |v[10:11]|, v[6:7]
.LBB29_56:                              ;   Parent Loop BB29_3 Depth=1
                                        ;     Parent Loop BB29_54 Depth=2
                                        ; =>    This Inner Loop Header: Depth=3
	s_andn2_b64 vcc, exec, s[48:49]
	s_cbranch_vccz .LBB29_58
; %bb.57:                               ;   in Loop: Header=BB29_56 Depth=3
	s_mov_b32 s9, s39
	s_mov_b64 s[46:47], -1
	s_cmp_ge_i32 s9, s29
	s_mov_b64 s[48:49], -1
                                        ; implicit-def: $sgpr39
	s_cbranch_scc0 .LBB29_55
	s_branch .LBB29_56
.LBB29_58:                              ;   in Loop: Header=BB29_54 Depth=2
	s_andn2_b64 vcc, exec, s[46:47]
	s_cbranch_vccz .LBB29_60
; %bb.59:                               ;   in Loop: Header=BB29_54 Depth=2
	v_mov_b32_e32 v3, v2
	s_mov_b32 s8, s9
	global_store_dwordx2 v2, v[2:3], s[40:41]
.LBB29_60:                              ;   in Loop: Header=BB29_54 Depth=2
	s_add_i32 s9, s38, 1
	s_cmp_eq_u32 s8, s38
	s_mov_b64 s[40:41], -1
	s_cbranch_scc1 .LBB29_76
; %bb.61:                               ;   in Loop: Header=BB29_54 Depth=2
	s_add_u32 s42, s58, s44
	s_addc_u32 s43, s59, s45
	global_load_dwordx2 v[6:7], v2, s[42:43]
	s_cmp_lg_u32 s8, s9
	s_cbranch_scc0 .LBB29_77
; %bb.62:                               ;   in Loop: Header=BB29_54 Depth=2
	s_mov_b64 s[46:47], 0
	s_cmp_lg_u32 s37, s60
	s_mov_b32 s9, s60
	s_mov_b64 s[48:49], 0
	s_cbranch_scc0 .LBB29_78
; %bb.63:                               ;   in Loop: Header=BB29_54 Depth=2
	s_add_u32 s48, s14, s44
	s_addc_u32 s49, s15, s45
	global_load_dwordx2 v[8:9], v2, s[48:49]
	global_load_dwordx2 v[10:11], v2, s[42:43] offset:8
	s_waitcnt vmcnt(1)
	v_cmp_gt_f64_e32 vcc, s[16:17], v[8:9]
	s_waitcnt vmcnt(0)
	v_add_f64 v[10:11], v[10:11], -v[6:7]
	s_and_b64 s[50:51], vcc, exec
	s_cselect_b32 s9, 0x100, 0
	v_ldexp_f64 v[8:9], v[8:9], s9
	s_cselect_b32 s9, 0xffffff80, 0
	v_rsq_f64_e32 v[12:13], v[8:9]
	v_cmp_class_f64_e32 vcc, v[8:9], v24
	v_mul_f64 v[14:15], v[8:9], v[12:13]
	v_mul_f64 v[12:13], v[12:13], 0.5
	v_fma_f64 v[16:17], -v[12:13], v[14:15], 0.5
	v_fma_f64 v[14:15], v[14:15], v[16:17], v[14:15]
	v_fma_f64 v[12:13], v[12:13], v[16:17], v[12:13]
	v_fma_f64 v[16:17], -v[14:15], v[14:15], v[8:9]
	v_fma_f64 v[14:15], v[16:17], v[12:13], v[14:15]
	v_fma_f64 v[16:17], -v[14:15], v[14:15], v[8:9]
	v_fma_f64 v[12:13], v[16:17], v[12:13], v[14:15]
	v_ldexp_f64 v[12:13], v[12:13], s9
	v_cndmask_b32_e32 v9, v13, v9, vcc
	v_cndmask_b32_e32 v8, v12, v8, vcc
	v_add_f64 v[12:13], v[8:9], v[8:9]
	v_div_scale_f64 v[14:15], s[50:51], v[12:13], v[12:13], v[10:11]
	v_rcp_f64_e32 v[16:17], v[14:15]
	v_fma_f64 v[18:19], -v[14:15], v[16:17], 1.0
	v_fma_f64 v[16:17], v[16:17], v[18:19], v[16:17]
	v_div_scale_f64 v[18:19], vcc, v[10:11], v[12:13], v[10:11]
	v_fma_f64 v[20:21], -v[14:15], v[16:17], 1.0
	v_fma_f64 v[16:17], v[16:17], v[20:21], v[16:17]
	v_mul_f64 v[20:21], v[18:19], v[16:17]
	v_fma_f64 v[14:15], -v[14:15], v[20:21], v[18:19]
	v_div_fmas_f64 v[14:15], v[14:15], v[16:17], v[20:21]
	v_div_fixup_f64 v[10:11], v[14:15], v[12:13], v[10:11]
	v_fma_f64 v[12:13], v[10:11], v[10:11], 1.0
	v_cmp_gt_f64_e32 vcc, s[16:17], v[12:13]
	s_and_b64 s[50:51], vcc, exec
	s_cselect_b32 s9, 0x100, 0
	v_ldexp_f64 v[12:13], v[12:13], s9
	s_cselect_b32 s9, 0xffffff80, 0
	v_rsq_f64_e32 v[14:15], v[12:13]
	v_cmp_class_f64_e32 vcc, v[12:13], v24
	v_mul_f64 v[16:17], v[12:13], v[14:15]
	v_mul_f64 v[14:15], v[14:15], 0.5
	v_fma_f64 v[18:19], -v[14:15], v[16:17], 0.5
	v_fma_f64 v[16:17], v[16:17], v[18:19], v[16:17]
	v_fma_f64 v[14:15], v[14:15], v[18:19], v[14:15]
	v_fma_f64 v[18:19], -v[16:17], v[16:17], v[12:13]
	v_fma_f64 v[16:17], v[18:19], v[14:15], v[16:17]
	v_fma_f64 v[18:19], -v[16:17], v[16:17], v[12:13]
	v_fma_f64 v[14:15], v[18:19], v[14:15], v[16:17]
	v_ldexp_f64 v[14:15], v[14:15], s9
	s_ashr_i32 s9, s8, 31
	s_lshl_b64 s[52:53], s[8:9], 3
	v_cndmask_b32_e32 v3, v15, v13, vcc
	v_cndmask_b32_e32 v12, v14, v12, vcc
	v_cmp_nle_f64_e32 vcc, 0, v[10:11]
	v_and_b32_e32 v13, 0x7fffffff, v3
	v_or_b32_e32 v3, 0x80000000, v3
	v_cndmask_b32_e32 v13, v13, v3, vcc
	v_add_f64 v[10:11], v[10:11], v[12:13]
	v_div_scale_f64 v[12:13], s[50:51], v[10:11], v[10:11], v[8:9]
	s_add_u32 s50, s58, s52
	s_addc_u32 s51, s59, s53
	s_nop 2
	global_load_dwordx2 v[18:19], v2, s[50:51]
	v_div_scale_f64 v[20:21], vcc, v[8:9], v[10:11], v[8:9]
	s_cmp_le_i32 s8, s38
	v_rcp_f64_e32 v[14:15], v[12:13]
	v_fma_f64 v[16:17], -v[12:13], v[14:15], 1.0
	v_fma_f64 v[14:15], v[14:15], v[16:17], v[14:15]
	v_fma_f64 v[16:17], -v[12:13], v[14:15], 1.0
	v_fma_f64 v[14:15], v[14:15], v[16:17], v[14:15]
	v_mul_f64 v[16:17], v[20:21], v[14:15]
	v_fma_f64 v[12:13], -v[12:13], v[16:17], v[20:21]
	v_div_fmas_f64 v[12:13], v[12:13], v[14:15], v[16:17]
	v_div_fixup_f64 v[8:9], v[12:13], v[10:11], v[8:9]
	v_mov_b32_e32 v12, 0
	v_mov_b32_e32 v13, 0
	v_add_f64 v[8:9], v[6:7], -v[8:9]
	s_waitcnt vmcnt(0)
	v_add_f64 v[18:19], v[18:19], -v[8:9]
	v_mul_f64 v[10:11], v[18:19], v[18:19]
	s_cbranch_scc1 .LBB29_98
; %bb.64:                               ;   in Loop: Header=BB29_54 Depth=2
	s_add_u32 s52, s14, s52
	s_addc_u32 s53, s15, s53
	global_load_dwordx2 v[14:15], v2, s[52:53] offset:-8
	global_load_dwordx2 v[20:21], v2, s[50:51] offset:-8
	s_waitcnt vmcnt(1)
	v_add_f64 v[12:13], v[10:11], v[14:15]
	v_div_scale_f64 v[16:17], s[52:53], v[12:13], v[12:13], v[10:11]
	v_rcp_f64_e32 v[22:23], v[16:17]
	v_fma_f64 v[25:26], -v[16:17], v[22:23], 1.0
	v_fma_f64 v[22:23], v[22:23], v[25:26], v[22:23]
	v_fma_f64 v[25:26], -v[16:17], v[22:23], 1.0
	v_fma_f64 v[22:23], v[22:23], v[25:26], v[22:23]
	v_div_scale_f64 v[25:26], vcc, v[10:11], v[12:13], v[10:11]
	v_mul_f64 v[27:28], v[25:26], v[22:23]
	v_fma_f64 v[16:17], -v[16:17], v[27:28], v[25:26]
	s_nop 1
	v_div_fmas_f64 v[16:17], v[16:17], v[22:23], v[27:28]
	v_div_fixup_f64 v[10:11], v[16:17], v[12:13], v[10:11]
	v_div_scale_f64 v[16:17], s[52:53], v[12:13], v[12:13], v[14:15]
	v_rcp_f64_e32 v[22:23], v[16:17]
	v_fma_f64 v[25:26], -v[16:17], v[22:23], 1.0
	v_fma_f64 v[22:23], v[22:23], v[25:26], v[22:23]
	v_fma_f64 v[25:26], -v[16:17], v[22:23], 1.0
	v_fma_f64 v[22:23], v[22:23], v[25:26], v[22:23]
	v_div_scale_f64 v[25:26], vcc, v[14:15], v[12:13], v[14:15]
	v_mul_f64 v[27:28], v[25:26], v[22:23]
	v_fma_f64 v[16:17], -v[16:17], v[27:28], v[25:26]
	s_nop 1
	v_div_fmas_f64 v[16:17], v[16:17], v[22:23], v[27:28]
	v_cmp_eq_f64_e32 vcc, 0, v[10:11]
	s_and_b64 vcc, exec, vcc
	v_div_fixup_f64 v[12:13], v[16:17], v[12:13], v[14:15]
	s_waitcnt vmcnt(0)
	v_add_f64 v[16:17], v[20:21], -v[8:9]
	v_mul_f64 v[22:23], v[18:19], v[12:13]
	v_fma_f64 v[16:17], v[10:11], v[16:17], -v[22:23]
	v_add_f64 v[20:21], v[20:21], -v[16:17]
	v_add_f64 v[18:19], v[18:19], v[20:21]
	global_store_dwordx2 v2, v[18:19], s[50:51]
	s_cbranch_vccnz .LBB29_66
; %bb.65:                               ;   in Loop: Header=BB29_54 Depth=2
	v_mul_f64 v[14:15], v[16:17], v[16:17]
	v_div_scale_f64 v[18:19], s[50:51], v[10:11], v[10:11], v[14:15]
	v_div_scale_f64 v[25:26], vcc, v[14:15], v[10:11], v[14:15]
	v_rcp_f64_e32 v[20:21], v[18:19]
	v_fma_f64 v[22:23], -v[18:19], v[20:21], 1.0
	v_fma_f64 v[20:21], v[20:21], v[22:23], v[20:21]
	v_fma_f64 v[22:23], -v[18:19], v[20:21], 1.0
	v_fma_f64 v[20:21], v[20:21], v[22:23], v[20:21]
	v_mul_f64 v[22:23], v[25:26], v[20:21]
	v_fma_f64 v[18:19], -v[18:19], v[22:23], v[25:26]
	v_div_fmas_f64 v[18:19], v[18:19], v[20:21], v[22:23]
	v_div_fixup_f64 v[14:15], v[18:19], v[10:11], v[14:15]
.LBB29_66:                              ;   in Loop: Header=BB29_54 Depth=2
	s_add_i32 s9, s8, -1
	s_cmp_le_i32 s9, s38
	s_cbranch_scc1 .LBB29_96
; %bb.67:                               ;   in Loop: Header=BB29_54 Depth=2
	s_add_i32 s50, s8, -2
	s_ashr_i32 s51, s50, 31
	s_lshl_b64 s[50:51], s[50:51], 3
	s_add_u32 s52, s68, s50
	s_addc_u32 s53, s69, s51
	s_add_u32 s56, s70, s50
	s_addc_u32 s57, s71, s51
	s_mov_b32 s9, -1
.LBB29_68:                              ;   Parent Loop BB29_3 Depth=1
                                        ;     Parent Loop BB29_54 Depth=2
                                        ; =>    This Inner Loop Header: Depth=3
	global_load_dwordx2 v[22:23], v2, s[56:57] offset:-8
	s_add_u32 s50, s56, -8
	s_addc_u32 s51, s57, -1
	s_cmp_eq_u32 s9, 0
	s_waitcnt vmcnt(0)
	v_add_f64 v[18:19], v[14:15], v[22:23]
	s_cbranch_scc1 .LBB29_70
; %bb.69:                               ;   in Loop: Header=BB29_68 Depth=3
	v_mul_f64 v[12:13], v[12:13], v[18:19]
	global_store_dwordx2 v2, v[12:13], s[56:57]
.LBB29_70:                              ;   in Loop: Header=BB29_68 Depth=3
	v_div_scale_f64 v[12:13], s[54:55], v[18:19], v[18:19], v[14:15]
	v_rcp_f64_e32 v[20:21], v[12:13]
	v_fma_f64 v[25:26], -v[12:13], v[20:21], 1.0
	v_fma_f64 v[20:21], v[20:21], v[25:26], v[20:21]
	v_fma_f64 v[25:26], -v[12:13], v[20:21], 1.0
	v_fma_f64 v[20:21], v[20:21], v[25:26], v[20:21]
	v_div_scale_f64 v[25:26], vcc, v[14:15], v[18:19], v[14:15]
	v_mul_f64 v[27:28], v[25:26], v[20:21]
	v_fma_f64 v[12:13], -v[12:13], v[27:28], v[25:26]
	s_nop 1
	v_div_fmas_f64 v[12:13], v[12:13], v[20:21], v[27:28]
	v_div_fixup_f64 v[20:21], v[12:13], v[18:19], v[14:15]
	v_div_scale_f64 v[12:13], s[54:55], v[18:19], v[18:19], v[22:23]
	s_add_u32 s54, s52, -8
	s_addc_u32 s55, s53, -1
	v_rcp_f64_e32 v[14:15], v[12:13]
	v_fma_f64 v[25:26], -v[12:13], v[14:15], 1.0
	v_fma_f64 v[14:15], v[14:15], v[25:26], v[14:15]
	v_fma_f64 v[25:26], -v[12:13], v[14:15], 1.0
	v_fma_f64 v[14:15], v[14:15], v[25:26], v[14:15]
	v_div_scale_f64 v[25:26], vcc, v[22:23], v[18:19], v[22:23]
	v_mul_f64 v[27:28], v[25:26], v[14:15]
	v_fma_f64 v[12:13], -v[12:13], v[27:28], v[25:26]
	s_nop 1
	v_div_fmas_f64 v[12:13], v[12:13], v[14:15], v[27:28]
	global_load_dwordx2 v[14:15], v2, s[52:53] offset:-8
	v_cmp_eq_f64_e32 vcc, 0, v[20:21]
	s_and_b64 vcc, exec, vcc
	v_div_fixup_f64 v[12:13], v[12:13], v[18:19], v[22:23]
	v_mul_f64 v[25:26], v[16:17], v[12:13]
	s_waitcnt vmcnt(0)
	v_add_f64 v[18:19], v[14:15], -v[8:9]
	v_fma_f64 v[18:19], v[20:21], v[18:19], -v[25:26]
	v_add_f64 v[14:15], v[14:15], -v[18:19]
	v_add_f64 v[14:15], v[16:17], v[14:15]
	global_store_dwordx2 v2, v[14:15], s[52:53]
	s_cbranch_vccz .LBB29_75
; %bb.71:                               ;   in Loop: Header=BB29_68 Depth=3
	v_mul_f64 v[14:15], v[10:11], v[22:23]
	s_cbranch_execnz .LBB29_73
.LBB29_72:                              ;   in Loop: Header=BB29_68 Depth=3
	v_mul_f64 v[10:11], v[18:19], v[18:19]
	v_div_scale_f64 v[14:15], s[52:53], v[20:21], v[20:21], v[10:11]
	v_div_scale_f64 v[25:26], vcc, v[10:11], v[20:21], v[10:11]
	v_rcp_f64_e32 v[16:17], v[14:15]
	v_fma_f64 v[22:23], -v[14:15], v[16:17], 1.0
	v_fma_f64 v[16:17], v[16:17], v[22:23], v[16:17]
	v_fma_f64 v[22:23], -v[14:15], v[16:17], 1.0
	v_fma_f64 v[16:17], v[16:17], v[22:23], v[16:17]
	v_mul_f64 v[22:23], v[25:26], v[16:17]
	v_fma_f64 v[14:15], -v[14:15], v[22:23], v[25:26]
	v_div_fmas_f64 v[14:15], v[14:15], v[16:17], v[22:23]
	v_div_fixup_f64 v[14:15], v[14:15], v[20:21], v[10:11]
.LBB29_73:                              ;   in Loop: Header=BB29_68 Depth=3
	s_add_i32 s9, s9, -1
	s_add_i32 s39, s8, s9
	s_cmp_le_i32 s39, s38
	s_cbranch_scc1 .LBB29_97
; %bb.74:                               ;   in Loop: Header=BB29_68 Depth=3
	v_mov_b32_e32 v10, v20
	v_mov_b32_e32 v16, v18
	s_mov_b64 s[56:57], s[50:51]
	s_mov_b64 s[52:53], s[54:55]
	v_mov_b32_e32 v11, v21
	v_mov_b32_e32 v17, v19
	s_branch .LBB29_68
.LBB29_75:                              ;   in Loop: Header=BB29_68 Depth=3
                                        ; implicit-def: $vgpr14_vgpr15
	s_branch .LBB29_72
.LBB29_76:                              ;   in Loop: Header=BB29_54 Depth=2
	s_mov_b32 s38, s9
	s_cbranch_execz .LBB29_53
	s_branch .LBB29_100
.LBB29_77:                              ;   in Loop: Header=BB29_54 Depth=2
	s_mov_b64 s[46:47], -1
	s_mov_b64 s[48:49], 0
                                        ; implicit-def: $sgpr9
.LBB29_78:                              ;   in Loop: Header=BB29_54 Depth=2
	s_and_b64 vcc, exec, s[46:47]
	s_cbranch_vccz .LBB29_99
.LBB29_79:                              ;   in Loop: Header=BB29_54 Depth=2
	s_add_u32 s44, s14, s44
	s_addc_u32 s45, s15, s45
	global_load_dwordx2 v[8:9], v2, s[44:45]
	s_waitcnt vmcnt(0)
	v_cmp_gt_f64_e32 vcc, s[16:17], v[8:9]
	s_and_b64 s[46:47], vcc, exec
	s_cselect_b32 s9, 0x100, 0
	v_ldexp_f64 v[8:9], v[8:9], s9
	s_cselect_b32 s39, 0xffffff80, 0
	s_ashr_i32 s9, s8, 31
	s_lshl_b64 s[8:9], s[8:9], 3
	s_add_u32 s46, s58, s8
	s_addc_u32 s47, s59, s9
	global_load_dwordx2 v[14:15], v2, s[46:47]
	v_rsq_f64_e32 v[10:11], v[8:9]
	v_cmp_class_f64_e32 vcc, v[8:9], v24
	v_mul_f64 v[12:13], v[8:9], v[10:11]
	v_mul_f64 v[10:11], v[10:11], 0.5
	v_fma_f64 v[16:17], -v[10:11], v[12:13], 0.5
	v_fma_f64 v[12:13], v[12:13], v[16:17], v[12:13]
	v_fma_f64 v[10:11], v[10:11], v[16:17], v[10:11]
	v_fma_f64 v[16:17], -v[12:13], v[12:13], v[8:9]
	v_fma_f64 v[12:13], v[16:17], v[10:11], v[12:13]
	v_fma_f64 v[16:17], -v[12:13], v[12:13], v[8:9]
	v_fma_f64 v[10:11], v[16:17], v[10:11], v[12:13]
	v_ldexp_f64 v[10:11], v[10:11], s39
	v_cndmask_b32_e32 v9, v11, v9, vcc
	v_cndmask_b32_e32 v8, v10, v8, vcc
	s_waitcnt vmcnt(0)
	v_add_f64 v[10:11], v[6:7], -v[14:15]
	v_add_f64 v[16:17], v[8:9], v[8:9]
	v_cmp_ngt_f64_e64 s[8:9], |v[10:11]|, |v[16:17]|
	s_and_b64 vcc, exec, s[8:9]
	s_cbranch_vccz .LBB29_82
; %bb.80:                               ;   in Loop: Header=BB29_54 Depth=2
	v_cmp_nlt_f64_e64 s[8:9], |v[10:11]|, |v[16:17]|
	s_and_b64 vcc, exec, s[8:9]
	s_cbranch_vccz .LBB29_83
; %bb.81:                               ;   in Loop: Header=BB29_54 Depth=2
	v_mul_f64 v[12:13], |v[16:17]|, s[24:25]
	s_cbranch_execz .LBB29_84
	s_branch .LBB29_85
.LBB29_82:                              ;   in Loop: Header=BB29_54 Depth=2
                                        ; implicit-def: $vgpr12_vgpr13
	s_branch .LBB29_86
.LBB29_83:                              ;   in Loop: Header=BB29_54 Depth=2
                                        ; implicit-def: $vgpr12_vgpr13
.LBB29_84:                              ;   in Loop: Header=BB29_54 Depth=2
	v_and_b32_e32 v13, 0x7fffffff, v11
	v_mov_b32_e32 v12, v10
	v_and_b32_e32 v19, 0x7fffffff, v17
	v_mov_b32_e32 v18, v16
	v_div_scale_f64 v[20:21], s[8:9], v[18:19], v[18:19], v[12:13]
	v_div_scale_f64 v[12:13], vcc, v[12:13], v[18:19], v[12:13]
	v_rcp_f64_e32 v[22:23], v[20:21]
	v_fma_f64 v[25:26], -v[20:21], v[22:23], 1.0
	v_fma_f64 v[22:23], v[22:23], v[25:26], v[22:23]
	v_fma_f64 v[18:19], -v[20:21], v[22:23], 1.0
	v_fma_f64 v[18:19], v[22:23], v[18:19], v[22:23]
	v_mul_f64 v[22:23], v[12:13], v[18:19]
	v_fma_f64 v[12:13], -v[20:21], v[22:23], v[12:13]
	v_div_fmas_f64 v[12:13], v[12:13], v[18:19], v[22:23]
	v_div_fixup_f64 v[12:13], v[12:13], |v[16:17]|, |v[10:11]|
	v_fma_f64 v[12:13], v[12:13], v[12:13], 1.0
	v_cmp_gt_f64_e32 vcc, s[16:17], v[12:13]
	s_and_b64 s[8:9], vcc, exec
	s_cselect_b32 s8, 0x100, 0
	v_ldexp_f64 v[12:13], v[12:13], s8
	s_cselect_b32 s8, 0xffffff80, 0
	v_rsq_f64_e32 v[18:19], v[12:13]
	v_cmp_class_f64_e32 vcc, v[12:13], v24
	v_mul_f64 v[20:21], v[12:13], v[18:19]
	v_mul_f64 v[18:19], v[18:19], 0.5
	v_fma_f64 v[22:23], -v[18:19], v[20:21], 0.5
	v_fma_f64 v[20:21], v[20:21], v[22:23], v[20:21]
	v_fma_f64 v[18:19], v[18:19], v[22:23], v[18:19]
	v_fma_f64 v[22:23], -v[20:21], v[20:21], v[12:13]
	v_fma_f64 v[20:21], v[22:23], v[18:19], v[20:21]
	v_fma_f64 v[22:23], -v[20:21], v[20:21], v[12:13]
	v_fma_f64 v[18:19], v[22:23], v[18:19], v[20:21]
	v_ldexp_f64 v[18:19], v[18:19], s8
	v_cndmask_b32_e32 v13, v19, v13, vcc
	v_cndmask_b32_e32 v12, v18, v12, vcc
	v_mul_f64 v[12:13], |v[16:17]|, v[12:13]
.LBB29_85:                              ;   in Loop: Header=BB29_54 Depth=2
	s_cbranch_execnz .LBB29_87
.LBB29_86:                              ;   in Loop: Header=BB29_54 Depth=2
	v_and_b32_e32 v13, 0x7fffffff, v17
	v_mov_b32_e32 v12, v16
	v_and_b32_e32 v19, 0x7fffffff, v11
	v_mov_b32_e32 v18, v10
	v_div_scale_f64 v[20:21], s[8:9], v[18:19], v[18:19], v[12:13]
	v_div_scale_f64 v[12:13], vcc, v[12:13], v[18:19], v[12:13]
	v_rcp_f64_e32 v[22:23], v[20:21]
	v_fma_f64 v[25:26], -v[20:21], v[22:23], 1.0
	v_fma_f64 v[22:23], v[22:23], v[25:26], v[22:23]
	v_fma_f64 v[18:19], -v[20:21], v[22:23], 1.0
	v_fma_f64 v[18:19], v[22:23], v[18:19], v[22:23]
	v_mul_f64 v[22:23], v[12:13], v[18:19]
	v_fma_f64 v[12:13], -v[20:21], v[22:23], v[12:13]
	v_div_fmas_f64 v[12:13], v[12:13], v[18:19], v[22:23]
	v_div_fixup_f64 v[12:13], v[12:13], |v[10:11]|, |v[16:17]|
	v_fma_f64 v[12:13], v[12:13], v[12:13], 1.0
	v_cmp_gt_f64_e32 vcc, s[16:17], v[12:13]
	s_and_b64 s[8:9], vcc, exec
	s_cselect_b32 s8, 0x100, 0
	v_ldexp_f64 v[12:13], v[12:13], s8
	s_cselect_b32 s8, 0xffffff80, 0
	v_rsq_f64_e32 v[16:17], v[12:13]
	v_cmp_class_f64_e32 vcc, v[12:13], v24
	v_mul_f64 v[18:19], v[12:13], v[16:17]
	v_mul_f64 v[16:17], v[16:17], 0.5
	v_fma_f64 v[20:21], -v[16:17], v[18:19], 0.5
	v_fma_f64 v[18:19], v[18:19], v[20:21], v[18:19]
	v_fma_f64 v[16:17], v[16:17], v[20:21], v[16:17]
	v_fma_f64 v[20:21], -v[18:19], v[18:19], v[12:13]
	v_fma_f64 v[18:19], v[20:21], v[16:17], v[18:19]
	v_fma_f64 v[20:21], -v[18:19], v[18:19], v[12:13]
	v_fma_f64 v[16:17], v[20:21], v[16:17], v[18:19]
	v_ldexp_f64 v[16:17], v[16:17], s8
	v_cndmask_b32_e32 v13, v17, v13, vcc
	v_cndmask_b32_e32 v12, v16, v12, vcc
	v_mul_f64 v[12:13], |v[10:11]|, v[12:13]
.LBB29_87:                              ;   in Loop: Header=BB29_54 Depth=2
	v_add_f64 v[16:17], v[6:7], v[14:15]
	v_cmp_gt_f64_e64 vcc, |v[6:7]|, |v[14:15]|
	v_cmp_ngt_f64_e64 s[8:9], 0, v[16:17]
	v_cndmask_b32_e32 v11, v7, v15, vcc
	v_cndmask_b32_e32 v10, v6, v14, vcc
	;; [unrolled: 1-line block ×4, first 2 shown]
	s_and_b64 vcc, exec, s[8:9]
	s_cbranch_vccz .LBB29_90
; %bb.88:                               ;   in Loop: Header=BB29_54 Depth=2
	v_cmp_nlt_f64_e32 vcc, 0, v[16:17]
	s_cbranch_vccz .LBB29_91
; %bb.89:                               ;   in Loop: Header=BB29_54 Depth=2
	v_mul_f64 v[6:7], v[12:13], 0.5
	v_mul_f64 v[18:19], v[12:13], -0.5
	s_cbranch_execz .LBB29_92
	s_branch .LBB29_93
.LBB29_90:                              ;   in Loop: Header=BB29_54 Depth=2
                                        ; implicit-def: $vgpr18_vgpr19
                                        ; implicit-def: $vgpr6_vgpr7
	s_branch .LBB29_94
.LBB29_91:                              ;   in Loop: Header=BB29_54 Depth=2
                                        ; implicit-def: $vgpr18_vgpr19
                                        ; implicit-def: $vgpr6_vgpr7
.LBB29_92:                              ;   in Loop: Header=BB29_54 Depth=2
	v_add_f64 v[6:7], v[16:17], v[12:13]
	v_mul_f64 v[6:7], v[6:7], 0.5
	v_div_scale_f64 v[18:19], s[8:9], v[6:7], v[6:7], v[14:15]
	v_rcp_f64_e32 v[20:21], v[18:19]
	v_fma_f64 v[22:23], -v[18:19], v[20:21], 1.0
	v_fma_f64 v[20:21], v[20:21], v[22:23], v[20:21]
	v_fma_f64 v[22:23], -v[18:19], v[20:21], 1.0
	v_fma_f64 v[20:21], v[20:21], v[22:23], v[20:21]
	v_div_scale_f64 v[22:23], vcc, v[14:15], v[6:7], v[14:15]
	v_mul_f64 v[25:26], v[22:23], v[20:21]
	v_fma_f64 v[18:19], -v[18:19], v[25:26], v[22:23]
	s_nop 1
	v_div_fmas_f64 v[18:19], v[18:19], v[20:21], v[25:26]
	v_div_scale_f64 v[20:21], s[8:9], v[6:7], v[6:7], v[8:9]
	v_div_fixup_f64 v[18:19], v[18:19], v[6:7], v[14:15]
	v_rcp_f64_e32 v[22:23], v[20:21]
	v_fma_f64 v[25:26], -v[20:21], v[22:23], 1.0
	v_fma_f64 v[22:23], v[22:23], v[25:26], v[22:23]
	v_fma_f64 v[25:26], -v[20:21], v[22:23], 1.0
	v_fma_f64 v[22:23], v[22:23], v[25:26], v[22:23]
	v_div_scale_f64 v[25:26], vcc, v[8:9], v[6:7], v[8:9]
	v_mul_f64 v[27:28], v[25:26], v[22:23]
	v_fma_f64 v[20:21], -v[20:21], v[27:28], v[25:26]
	s_nop 1
	v_div_fmas_f64 v[20:21], v[20:21], v[22:23], v[27:28]
	v_div_fixup_f64 v[20:21], v[20:21], v[6:7], v[8:9]
	v_mul_f64 v[20:21], v[8:9], v[20:21]
	v_fma_f64 v[18:19], v[10:11], v[18:19], -v[20:21]
.LBB29_93:                              ;   in Loop: Header=BB29_54 Depth=2
	s_cbranch_execnz .LBB29_95
.LBB29_94:                              ;   in Loop: Header=BB29_54 Depth=2
	v_add_f64 v[6:7], v[16:17], -v[12:13]
	v_mul_f64 v[6:7], v[6:7], 0.5
	v_div_scale_f64 v[12:13], s[8:9], v[6:7], v[6:7], v[14:15]
	v_rcp_f64_e32 v[16:17], v[12:13]
	v_fma_f64 v[18:19], -v[12:13], v[16:17], 1.0
	v_fma_f64 v[16:17], v[16:17], v[18:19], v[16:17]
	v_fma_f64 v[18:19], -v[12:13], v[16:17], 1.0
	v_fma_f64 v[16:17], v[16:17], v[18:19], v[16:17]
	v_div_scale_f64 v[18:19], vcc, v[14:15], v[6:7], v[14:15]
	v_mul_f64 v[20:21], v[18:19], v[16:17]
	v_fma_f64 v[12:13], -v[12:13], v[20:21], v[18:19]
	s_nop 1
	v_div_fmas_f64 v[12:13], v[12:13], v[16:17], v[20:21]
	v_div_fixup_f64 v[12:13], v[12:13], v[6:7], v[14:15]
	v_div_scale_f64 v[14:15], s[8:9], v[6:7], v[6:7], v[8:9]
	v_rcp_f64_e32 v[16:17], v[14:15]
	v_fma_f64 v[18:19], -v[14:15], v[16:17], 1.0
	v_fma_f64 v[16:17], v[16:17], v[18:19], v[16:17]
	v_fma_f64 v[18:19], -v[14:15], v[16:17], 1.0
	v_fma_f64 v[16:17], v[16:17], v[18:19], v[16:17]
	v_div_scale_f64 v[18:19], vcc, v[8:9], v[6:7], v[8:9]
	v_mul_f64 v[20:21], v[18:19], v[16:17]
	v_fma_f64 v[14:15], -v[14:15], v[20:21], v[18:19]
	s_nop 1
	v_div_fmas_f64 v[14:15], v[14:15], v[16:17], v[20:21]
	v_div_fixup_f64 v[14:15], v[14:15], v[6:7], v[8:9]
	v_mul_f64 v[8:9], v[8:9], v[14:15]
	v_fma_f64 v[18:19], v[10:11], v[12:13], -v[8:9]
.LBB29_95:                              ;   in Loop: Header=BB29_54 Depth=2
	v_mov_b32_e32 v3, v2
	global_store_dwordx2 v2, v[6:7], s[42:43]
	global_store_dwordx2 v2, v[18:19], s[46:47]
	;; [unrolled: 1-line block ×3, first 2 shown]
	s_add_i32 s38, s38, 2
	s_cbranch_execz .LBB29_53
	s_branch .LBB29_100
.LBB29_96:                              ;   in Loop: Header=BB29_54 Depth=2
	v_mov_b32_e32 v19, v17
	v_mov_b32_e32 v18, v16
.LBB29_97:                              ;   in Loop: Header=BB29_54 Depth=2
	v_mov_b32_e32 v10, v14
	v_mov_b32_e32 v11, v15
.LBB29_98:                              ;   in Loop: Header=BB29_54 Depth=2
	v_mul_f64 v[10:11], v[12:13], v[10:11]
	v_add_f64 v[8:9], v[8:9], v[18:19]
	s_add_i32 s9, s37, 1
	global_store_dwordx2 v2, v[10:11], s[48:49]
	global_store_dwordx2 v2, v[8:9], s[42:43]
	s_mov_b64 s[48:49], -1
	s_and_b64 vcc, exec, s[46:47]
	s_cbranch_vccnz .LBB29_79
.LBB29_99:                              ;   in Loop: Header=BB29_54 Depth=2
	s_mov_b32 s37, s9
	s_and_b64 vcc, exec, s[48:49]
	s_cbranch_vccz .LBB29_53
.LBB29_100:                             ;   in Loop: Header=BB29_54 Depth=2
	s_cmp_gt_i32 s38, s29
	s_cselect_b64 s[8:9], -1, 0
	s_cmp_ge_i32 s37, s60
	s_cselect_b64 s[40:41], -1, 0
	s_or_b64 s[40:41], s[8:9], s[40:41]
	s_branch .LBB29_53
.LBB29_101:                             ;   in Loop: Header=BB29_102 Depth=2
	s_andn2_b64 vcc, exec, s[8:9]
	s_cbranch_vccz .LBB29_43
.LBB29_102:                             ;   Parent Loop BB29_3 Depth=1
                                        ; =>  This Loop Header: Depth=2
                                        ;       Child Loop BB29_104 Depth 3
                                        ;       Child Loop BB29_117 Depth 3
	s_ashr_i32 s37, s36, 31
	s_min_i32 s2, s29, s36
	s_lshl_b64 s[42:43], s[36:37], 3
	s_add_u32 s38, s66, s42
	s_addc_u32 s39, s67, s43
	s_add_u32 s8, s70, s42
	s_addc_u32 s9, s71, s43
	s_mov_b32 s3, s36
	s_mov_b64 s[40:41], -1
	s_cmp_le_i32 s3, s29
	s_mov_b64 s[44:45], -1
                                        ; implicit-def: $sgpr37
	s_cbranch_scc1 .LBB29_104
.LBB29_103:                             ;   in Loop: Header=BB29_102 Depth=2
	global_load_dwordx4 v[6:9], v2, s[38:39] offset:-8
	global_load_dwordx2 v[10:11], v2, s[8:9] offset:-16
	s_add_i32 s37, s3, -1
	s_add_u32 s38, s38, -8
	s_addc_u32 s39, s39, -1
	s_add_u32 s8, s8, -8
	s_addc_u32 s9, s9, -1
	s_mov_b64 s[40:41], 0
	s_waitcnt vmcnt(1)
	v_mul_f64 v[6:7], v[8:9], v[6:7]
	v_mul_f64 v[6:7], v[0:1], |v[6:7]|
	s_waitcnt vmcnt(0)
	v_cmp_le_f64_e64 s[44:45], |v[10:11]|, v[6:7]
.LBB29_104:                             ;   Parent Loop BB29_3 Depth=1
                                        ;     Parent Loop BB29_102 Depth=2
                                        ; =>    This Inner Loop Header: Depth=3
	s_andn2_b64 vcc, exec, s[44:45]
	s_cbranch_vccz .LBB29_106
; %bb.105:                              ;   in Loop: Header=BB29_104 Depth=3
	s_mov_b32 s3, s37
	s_mov_b64 s[40:41], -1
	s_cmp_le_i32 s3, s29
	s_mov_b64 s[44:45], -1
                                        ; implicit-def: $sgpr37
	s_cbranch_scc0 .LBB29_103
	s_branch .LBB29_104
.LBB29_106:                             ;   in Loop: Header=BB29_102 Depth=2
	s_andn2_b64 vcc, exec, s[40:41]
	s_cbranch_vccz .LBB29_108
; %bb.107:                              ;   in Loop: Header=BB29_102 Depth=2
	v_mov_b32_e32 v3, v2
	s_mov_b32 s2, s3
	global_store_dwordx2 v2, v[2:3], s[8:9] offset:-8
.LBB29_108:                             ;   in Loop: Header=BB29_102 Depth=2
	s_add_i32 s3, s36, -1
	s_cmp_eq_u32 s2, s36
	s_mov_b64 s[8:9], -1
	s_cbranch_scc1 .LBB29_123
; %bb.109:                              ;   in Loop: Header=BB29_102 Depth=2
	s_add_u32 s38, s58, s42
	s_addc_u32 s39, s59, s43
	global_load_dwordx2 v[6:7], v2, s[38:39]
	s_cmp_lg_u32 s2, s3
	s_cbranch_scc0 .LBB29_124
; %bb.110:                              ;   in Loop: Header=BB29_102 Depth=2
	s_mov_b64 s[40:41], 0
	s_cmp_lg_u32 s73, s60
	s_mov_b32 s3, s60
	s_mov_b64 s[44:45], 0
	s_cbranch_scc0 .LBB29_125
; %bb.111:                              ;   in Loop: Header=BB29_102 Depth=2
	s_add_u32 s42, s14, s42
	s_addc_u32 s43, s15, s43
	global_load_dwordx2 v[8:9], v2, s[42:43] offset:-8
	global_load_dwordx2 v[10:11], v2, s[38:39] offset:-8
	s_waitcnt vmcnt(1)
	v_cmp_gt_f64_e32 vcc, s[16:17], v[8:9]
	s_waitcnt vmcnt(0)
	v_add_f64 v[10:11], v[10:11], -v[6:7]
	s_and_b64 s[44:45], vcc, exec
	s_cselect_b32 s3, 0x100, 0
	v_ldexp_f64 v[8:9], v[8:9], s3
	s_cselect_b32 s3, 0xffffff80, 0
	v_rsq_f64_e32 v[12:13], v[8:9]
	v_cmp_class_f64_e32 vcc, v[8:9], v24
	v_mul_f64 v[14:15], v[8:9], v[12:13]
	v_mul_f64 v[12:13], v[12:13], 0.5
	v_fma_f64 v[16:17], -v[12:13], v[14:15], 0.5
	v_fma_f64 v[14:15], v[14:15], v[16:17], v[14:15]
	v_fma_f64 v[12:13], v[12:13], v[16:17], v[12:13]
	v_fma_f64 v[16:17], -v[14:15], v[14:15], v[8:9]
	v_fma_f64 v[14:15], v[16:17], v[12:13], v[14:15]
	v_fma_f64 v[16:17], -v[14:15], v[14:15], v[8:9]
	v_fma_f64 v[12:13], v[16:17], v[12:13], v[14:15]
	v_ldexp_f64 v[12:13], v[12:13], s3
	v_cndmask_b32_e32 v9, v13, v9, vcc
	v_cndmask_b32_e32 v8, v12, v8, vcc
	v_add_f64 v[12:13], v[8:9], v[8:9]
	v_div_scale_f64 v[14:15], s[44:45], v[12:13], v[12:13], v[10:11]
	v_rcp_f64_e32 v[16:17], v[14:15]
	v_fma_f64 v[18:19], -v[14:15], v[16:17], 1.0
	v_fma_f64 v[16:17], v[16:17], v[18:19], v[16:17]
	v_div_scale_f64 v[18:19], vcc, v[10:11], v[12:13], v[10:11]
	v_fma_f64 v[20:21], -v[14:15], v[16:17], 1.0
	v_fma_f64 v[16:17], v[16:17], v[20:21], v[16:17]
	v_mul_f64 v[20:21], v[18:19], v[16:17]
	v_fma_f64 v[14:15], -v[14:15], v[20:21], v[18:19]
	v_div_fmas_f64 v[14:15], v[14:15], v[16:17], v[20:21]
	v_div_fixup_f64 v[10:11], v[14:15], v[12:13], v[10:11]
	v_fma_f64 v[12:13], v[10:11], v[10:11], 1.0
	v_cmp_gt_f64_e32 vcc, s[16:17], v[12:13]
	s_and_b64 s[44:45], vcc, exec
	s_cselect_b32 s3, 0x100, 0
	v_ldexp_f64 v[12:13], v[12:13], s3
	s_cselect_b32 s3, 0xffffff80, 0
	v_rsq_f64_e32 v[14:15], v[12:13]
	v_cmp_class_f64_e32 vcc, v[12:13], v24
	v_mul_f64 v[16:17], v[12:13], v[14:15]
	v_mul_f64 v[14:15], v[14:15], 0.5
	v_fma_f64 v[18:19], -v[14:15], v[16:17], 0.5
	v_fma_f64 v[16:17], v[16:17], v[18:19], v[16:17]
	v_fma_f64 v[14:15], v[14:15], v[18:19], v[14:15]
	v_fma_f64 v[18:19], -v[16:17], v[16:17], v[12:13]
	v_fma_f64 v[16:17], v[18:19], v[14:15], v[16:17]
	v_fma_f64 v[18:19], -v[16:17], v[16:17], v[12:13]
	v_fma_f64 v[14:15], v[18:19], v[14:15], v[16:17]
	v_ldexp_f64 v[14:15], v[14:15], s3
	s_ashr_i32 s3, s2, 31
	s_lshl_b64 s[46:47], s[2:3], 3
	v_cndmask_b32_e32 v3, v15, v13, vcc
	v_cndmask_b32_e32 v12, v14, v12, vcc
	v_cmp_nle_f64_e32 vcc, 0, v[10:11]
	v_and_b32_e32 v13, 0x7fffffff, v3
	v_or_b32_e32 v3, 0x80000000, v3
	v_cndmask_b32_e32 v13, v13, v3, vcc
	v_add_f64 v[10:11], v[10:11], v[12:13]
	v_div_scale_f64 v[12:13], s[44:45], v[10:11], v[10:11], v[8:9]
	s_add_u32 s44, s58, s46
	s_addc_u32 s45, s59, s47
	s_nop 2
	global_load_dwordx2 v[18:19], v2, s[44:45]
	v_div_scale_f64 v[20:21], vcc, v[8:9], v[10:11], v[8:9]
	s_cmp_ge_i32 s2, s36
	v_rcp_f64_e32 v[14:15], v[12:13]
	v_fma_f64 v[16:17], -v[12:13], v[14:15], 1.0
	v_fma_f64 v[14:15], v[14:15], v[16:17], v[14:15]
	v_fma_f64 v[16:17], -v[12:13], v[14:15], 1.0
	v_fma_f64 v[14:15], v[14:15], v[16:17], v[14:15]
	v_mul_f64 v[16:17], v[20:21], v[14:15]
	v_fma_f64 v[12:13], -v[12:13], v[16:17], v[20:21]
	v_div_fmas_f64 v[12:13], v[12:13], v[14:15], v[16:17]
	v_div_fixup_f64 v[8:9], v[12:13], v[10:11], v[8:9]
	v_mov_b32_e32 v10, 0
	v_mov_b32_e32 v11, 0
	v_add_f64 v[8:9], v[6:7], -v[8:9]
	s_waitcnt vmcnt(0)
	v_add_f64 v[16:17], v[18:19], -v[8:9]
	v_mul_f64 v[12:13], v[16:17], v[16:17]
	s_cbranch_scc1 .LBB29_145
; %bb.112:                              ;   in Loop: Header=BB29_102 Depth=2
	s_add_u32 s46, s14, s46
	s_addc_u32 s47, s15, s47
	global_load_dwordx2 v[14:15], v2, s[46:47]
	s_waitcnt vmcnt(0)
	v_add_f64 v[10:11], v[12:13], v[14:15]
	v_div_scale_f64 v[18:19], s[46:47], v[10:11], v[10:11], v[12:13]
	v_rcp_f64_e32 v[20:21], v[18:19]
	v_fma_f64 v[22:23], -v[18:19], v[20:21], 1.0
	v_fma_f64 v[20:21], v[20:21], v[22:23], v[20:21]
	v_fma_f64 v[22:23], -v[18:19], v[20:21], 1.0
	v_fma_f64 v[20:21], v[20:21], v[22:23], v[20:21]
	v_div_scale_f64 v[22:23], vcc, v[12:13], v[10:11], v[12:13]
	v_mul_f64 v[25:26], v[22:23], v[20:21]
	v_fma_f64 v[18:19], -v[18:19], v[25:26], v[22:23]
	s_nop 1
	v_div_fmas_f64 v[18:19], v[18:19], v[20:21], v[25:26]
	v_div_fixup_f64 v[12:13], v[18:19], v[10:11], v[12:13]
	v_div_scale_f64 v[18:19], s[46:47], v[10:11], v[10:11], v[14:15]
	v_rcp_f64_e32 v[20:21], v[18:19]
	v_fma_f64 v[22:23], -v[18:19], v[20:21], 1.0
	v_fma_f64 v[20:21], v[20:21], v[22:23], v[20:21]
	v_fma_f64 v[22:23], -v[18:19], v[20:21], 1.0
	v_fma_f64 v[20:21], v[20:21], v[22:23], v[20:21]
	v_div_scale_f64 v[22:23], vcc, v[14:15], v[10:11], v[14:15]
	v_mul_f64 v[25:26], v[22:23], v[20:21]
	v_fma_f64 v[18:19], -v[18:19], v[25:26], v[22:23]
	s_nop 1
	v_div_fmas_f64 v[18:19], v[18:19], v[20:21], v[25:26]
	global_load_dwordx2 v[20:21], v2, s[44:45] offset:8
	v_cmp_eq_f64_e32 vcc, 0, v[12:13]
	s_and_b64 vcc, exec, vcc
	v_div_fixup_f64 v[10:11], v[18:19], v[10:11], v[14:15]
	v_mul_f64 v[22:23], v[16:17], v[10:11]
	s_waitcnt vmcnt(0)
	v_add_f64 v[18:19], v[20:21], -v[8:9]
	v_fma_f64 v[18:19], v[12:13], v[18:19], -v[22:23]
	v_add_f64 v[20:21], v[20:21], -v[18:19]
	v_add_f64 v[16:17], v[16:17], v[20:21]
	global_store_dwordx2 v2, v[16:17], s[44:45]
	s_cbranch_vccnz .LBB29_114
; %bb.113:                              ;   in Loop: Header=BB29_102 Depth=2
	v_mul_f64 v[14:15], v[18:19], v[18:19]
	v_div_scale_f64 v[16:17], s[44:45], v[12:13], v[12:13], v[14:15]
	v_div_scale_f64 v[25:26], vcc, v[14:15], v[12:13], v[14:15]
	v_rcp_f64_e32 v[20:21], v[16:17]
	v_fma_f64 v[22:23], -v[16:17], v[20:21], 1.0
	v_fma_f64 v[20:21], v[20:21], v[22:23], v[20:21]
	v_fma_f64 v[22:23], -v[16:17], v[20:21], 1.0
	v_fma_f64 v[20:21], v[20:21], v[22:23], v[20:21]
	v_mul_f64 v[22:23], v[25:26], v[20:21]
	v_fma_f64 v[16:17], -v[16:17], v[22:23], v[25:26]
	v_div_fmas_f64 v[16:17], v[16:17], v[20:21], v[22:23]
	v_div_fixup_f64 v[14:15], v[16:17], v[12:13], v[14:15]
.LBB29_114:                             ;   in Loop: Header=BB29_102 Depth=2
	s_add_i32 s44, s2, 1
	s_cmp_ge_i32 s44, s36
	s_cbranch_scc1 .LBB29_143
; %bb.115:                              ;   in Loop: Header=BB29_102 Depth=2
	s_ashr_i32 s45, s44, 31
	s_lshl_b64 s[46:47], s[44:45], 3
	s_add_u32 s44, s62, s46
	s_addc_u32 s45, s63, s47
	s_add_u32 s46, s68, s46
	s_addc_u32 s47, s69, s47
	s_mov_b32 s3, 1
	global_load_dwordx2 v[22:23], v2, s[44:45]
	s_cmp_eq_u32 s3, 0
	s_waitcnt vmcnt(0)
	v_add_f64 v[16:17], v[14:15], v[22:23]
	s_cbranch_scc1 .LBB29_117
.LBB29_116:                             ;   in Loop: Header=BB29_102 Depth=2
	v_mul_f64 v[10:11], v[10:11], v[16:17]
	global_store_dwordx2 v2, v[10:11], s[44:45] offset:-8
.LBB29_117:                             ;   Parent Loop BB29_3 Depth=1
                                        ;     Parent Loop BB29_102 Depth=2
                                        ; =>    This Inner Loop Header: Depth=3
	v_div_scale_f64 v[10:11], s[48:49], v[16:17], v[16:17], v[14:15]
	v_rcp_f64_e32 v[20:21], v[10:11]
	v_fma_f64 v[25:26], -v[10:11], v[20:21], 1.0
	v_fma_f64 v[20:21], v[20:21], v[25:26], v[20:21]
	v_fma_f64 v[25:26], -v[10:11], v[20:21], 1.0
	v_fma_f64 v[20:21], v[20:21], v[25:26], v[20:21]
	v_div_scale_f64 v[25:26], vcc, v[14:15], v[16:17], v[14:15]
	v_mul_f64 v[27:28], v[25:26], v[20:21]
	v_fma_f64 v[10:11], -v[10:11], v[27:28], v[25:26]
	s_nop 1
	v_div_fmas_f64 v[10:11], v[10:11], v[20:21], v[27:28]
	v_div_fixup_f64 v[20:21], v[10:11], v[16:17], v[14:15]
	v_div_scale_f64 v[10:11], s[48:49], v[16:17], v[16:17], v[22:23]
	v_rcp_f64_e32 v[14:15], v[10:11]
	v_fma_f64 v[25:26], -v[10:11], v[14:15], 1.0
	v_fma_f64 v[14:15], v[14:15], v[25:26], v[14:15]
	v_fma_f64 v[25:26], -v[10:11], v[14:15], 1.0
	v_fma_f64 v[14:15], v[14:15], v[25:26], v[14:15]
	v_div_scale_f64 v[25:26], vcc, v[22:23], v[16:17], v[22:23]
	v_mul_f64 v[27:28], v[25:26], v[14:15]
	v_fma_f64 v[10:11], -v[10:11], v[27:28], v[25:26]
	s_nop 1
	v_div_fmas_f64 v[10:11], v[10:11], v[14:15], v[27:28]
	global_load_dwordx2 v[14:15], v2, s[46:47]
	v_cmp_eq_f64_e32 vcc, 0, v[20:21]
	s_and_b64 vcc, exec, vcc
	v_div_fixup_f64 v[10:11], v[10:11], v[16:17], v[22:23]
	v_mul_f64 v[25:26], v[18:19], v[10:11]
	s_waitcnt vmcnt(0)
	v_add_f64 v[16:17], v[14:15], -v[8:9]
	v_fma_f64 v[16:17], v[20:21], v[16:17], -v[25:26]
	v_add_f64 v[14:15], v[14:15], -v[16:17]
	v_add_f64 v[14:15], v[18:19], v[14:15]
	global_store_dwordx2 v2, v[14:15], s[46:47] offset:-8
	s_cbranch_vccz .LBB29_122
; %bb.118:                              ;   in Loop: Header=BB29_117 Depth=3
	v_mul_f64 v[14:15], v[12:13], v[22:23]
	s_cbranch_execnz .LBB29_120
.LBB29_119:                             ;   in Loop: Header=BB29_117 Depth=3
	v_mul_f64 v[12:13], v[16:17], v[16:17]
	v_div_scale_f64 v[14:15], s[48:49], v[20:21], v[20:21], v[12:13]
	v_div_scale_f64 v[25:26], vcc, v[12:13], v[20:21], v[12:13]
	v_rcp_f64_e32 v[18:19], v[14:15]
	v_fma_f64 v[22:23], -v[14:15], v[18:19], 1.0
	v_fma_f64 v[18:19], v[18:19], v[22:23], v[18:19]
	v_fma_f64 v[22:23], -v[14:15], v[18:19], 1.0
	v_fma_f64 v[18:19], v[18:19], v[22:23], v[18:19]
	v_mul_f64 v[22:23], v[25:26], v[18:19]
	v_fma_f64 v[14:15], -v[14:15], v[22:23], v[25:26]
	v_div_fmas_f64 v[14:15], v[14:15], v[18:19], v[22:23]
	v_div_fixup_f64 v[14:15], v[14:15], v[20:21], v[12:13]
.LBB29_120:                             ;   in Loop: Header=BB29_117 Depth=3
	s_add_i32 s3, s3, 1
	s_add_i32 s37, s2, s3
	s_add_u32 s44, s44, 8
	s_addc_u32 s45, s45, 0
	s_add_u32 s46, s46, 8
	s_addc_u32 s47, s47, 0
	s_cmp_ge_i32 s37, s36
	s_cbranch_scc1 .LBB29_144
; %bb.121:                              ;   in Loop: Header=BB29_117 Depth=3
	v_mov_b32_e32 v12, v20
	v_mov_b32_e32 v19, v17
	;; [unrolled: 1-line block ×4, first 2 shown]
	global_load_dwordx2 v[22:23], v2, s[44:45]
	s_cmp_eq_u32 s3, 0
	s_waitcnt vmcnt(0)
	v_add_f64 v[16:17], v[14:15], v[22:23]
	s_cbranch_scc0 .LBB29_116
	s_branch .LBB29_117
.LBB29_122:                             ;   in Loop: Header=BB29_117 Depth=3
                                        ; implicit-def: $vgpr14_vgpr15
	s_branch .LBB29_119
.LBB29_123:                             ;   in Loop: Header=BB29_102 Depth=2
	s_mov_b32 s36, s3
	s_cbranch_execz .LBB29_101
	s_branch .LBB29_147
.LBB29_124:                             ;   in Loop: Header=BB29_102 Depth=2
	s_mov_b64 s[40:41], -1
	s_mov_b64 s[44:45], 0
                                        ; implicit-def: $sgpr3
.LBB29_125:                             ;   in Loop: Header=BB29_102 Depth=2
	s_and_b64 vcc, exec, s[40:41]
	s_cbranch_vccz .LBB29_146
.LBB29_126:                             ;   in Loop: Header=BB29_102 Depth=2
	s_ashr_i32 s3, s2, 31
	s_lshl_b64 s[2:3], s[2:3], 3
	s_add_u32 s40, s14, s2
	s_addc_u32 s41, s15, s3
	global_load_dwordx2 v[8:9], v2, s[40:41]
	s_waitcnt vmcnt(0)
	v_cmp_gt_f64_e32 vcc, s[16:17], v[8:9]
	s_and_b64 s[42:43], vcc, exec
	s_cselect_b32 s37, 0x100, 0
	v_ldexp_f64 v[8:9], v[8:9], s37
	s_cselect_b32 s37, 0xffffff80, 0
	s_add_u32 s42, s58, s2
	s_addc_u32 s43, s59, s3
	global_load_dwordx2 v[10:11], v2, s[42:43]
	v_rsq_f64_e32 v[12:13], v[8:9]
	v_cmp_class_f64_e32 vcc, v[8:9], v24
	v_mul_f64 v[14:15], v[8:9], v[12:13]
	v_mul_f64 v[12:13], v[12:13], 0.5
	v_fma_f64 v[16:17], -v[12:13], v[14:15], 0.5
	v_fma_f64 v[14:15], v[14:15], v[16:17], v[14:15]
	v_fma_f64 v[12:13], v[12:13], v[16:17], v[12:13]
	v_fma_f64 v[16:17], -v[14:15], v[14:15], v[8:9]
	v_fma_f64 v[14:15], v[16:17], v[12:13], v[14:15]
	v_fma_f64 v[16:17], -v[14:15], v[14:15], v[8:9]
	v_fma_f64 v[12:13], v[16:17], v[12:13], v[14:15]
	v_ldexp_f64 v[12:13], v[12:13], s37
	s_waitcnt vmcnt(0)
	v_add_f64 v[14:15], v[6:7], -v[10:11]
	v_cndmask_b32_e32 v9, v13, v9, vcc
	v_cndmask_b32_e32 v8, v12, v8, vcc
	v_add_f64 v[16:17], v[8:9], v[8:9]
	v_cmp_ngt_f64_e64 s[2:3], |v[14:15]|, |v[16:17]|
	s_and_b64 vcc, exec, s[2:3]
	s_cbranch_vccz .LBB29_129
; %bb.127:                              ;   in Loop: Header=BB29_102 Depth=2
	v_cmp_nlt_f64_e64 s[2:3], |v[14:15]|, |v[16:17]|
	s_and_b64 vcc, exec, s[2:3]
	s_cbranch_vccz .LBB29_130
; %bb.128:                              ;   in Loop: Header=BB29_102 Depth=2
	v_mul_f64 v[12:13], |v[16:17]|, s[24:25]
	s_cbranch_execz .LBB29_131
	s_branch .LBB29_132
.LBB29_129:                             ;   in Loop: Header=BB29_102 Depth=2
                                        ; implicit-def: $vgpr12_vgpr13
	s_branch .LBB29_133
.LBB29_130:                             ;   in Loop: Header=BB29_102 Depth=2
                                        ; implicit-def: $vgpr12_vgpr13
.LBB29_131:                             ;   in Loop: Header=BB29_102 Depth=2
	v_and_b32_e32 v13, 0x7fffffff, v15
	v_mov_b32_e32 v12, v14
	v_and_b32_e32 v19, 0x7fffffff, v17
	v_mov_b32_e32 v18, v16
	v_div_scale_f64 v[20:21], s[2:3], v[18:19], v[18:19], v[12:13]
	v_div_scale_f64 v[12:13], vcc, v[12:13], v[18:19], v[12:13]
	v_rcp_f64_e32 v[22:23], v[20:21]
	v_fma_f64 v[25:26], -v[20:21], v[22:23], 1.0
	v_fma_f64 v[22:23], v[22:23], v[25:26], v[22:23]
	v_fma_f64 v[18:19], -v[20:21], v[22:23], 1.0
	v_fma_f64 v[18:19], v[22:23], v[18:19], v[22:23]
	v_mul_f64 v[22:23], v[12:13], v[18:19]
	v_fma_f64 v[12:13], -v[20:21], v[22:23], v[12:13]
	v_div_fmas_f64 v[12:13], v[12:13], v[18:19], v[22:23]
	v_div_fixup_f64 v[12:13], v[12:13], |v[16:17]|, |v[14:15]|
	v_fma_f64 v[12:13], v[12:13], v[12:13], 1.0
	v_cmp_gt_f64_e32 vcc, s[16:17], v[12:13]
	s_and_b64 s[2:3], vcc, exec
	s_cselect_b32 s2, 0x100, 0
	v_ldexp_f64 v[12:13], v[12:13], s2
	s_cselect_b32 s2, 0xffffff80, 0
	v_rsq_f64_e32 v[18:19], v[12:13]
	v_cmp_class_f64_e32 vcc, v[12:13], v24
	v_mul_f64 v[20:21], v[12:13], v[18:19]
	v_mul_f64 v[18:19], v[18:19], 0.5
	v_fma_f64 v[22:23], -v[18:19], v[20:21], 0.5
	v_fma_f64 v[20:21], v[20:21], v[22:23], v[20:21]
	v_fma_f64 v[18:19], v[18:19], v[22:23], v[18:19]
	v_fma_f64 v[22:23], -v[20:21], v[20:21], v[12:13]
	v_fma_f64 v[20:21], v[22:23], v[18:19], v[20:21]
	v_fma_f64 v[22:23], -v[20:21], v[20:21], v[12:13]
	v_fma_f64 v[18:19], v[22:23], v[18:19], v[20:21]
	v_ldexp_f64 v[18:19], v[18:19], s2
	v_cndmask_b32_e32 v13, v19, v13, vcc
	v_cndmask_b32_e32 v12, v18, v12, vcc
	v_mul_f64 v[12:13], |v[16:17]|, v[12:13]
.LBB29_132:                             ;   in Loop: Header=BB29_102 Depth=2
	s_cbranch_execnz .LBB29_134
.LBB29_133:                             ;   in Loop: Header=BB29_102 Depth=2
	v_and_b32_e32 v13, 0x7fffffff, v17
	v_mov_b32_e32 v12, v16
	v_and_b32_e32 v19, 0x7fffffff, v15
	v_mov_b32_e32 v18, v14
	v_div_scale_f64 v[20:21], s[2:3], v[18:19], v[18:19], v[12:13]
	v_div_scale_f64 v[12:13], vcc, v[12:13], v[18:19], v[12:13]
	v_rcp_f64_e32 v[22:23], v[20:21]
	v_fma_f64 v[25:26], -v[20:21], v[22:23], 1.0
	v_fma_f64 v[22:23], v[22:23], v[25:26], v[22:23]
	v_fma_f64 v[18:19], -v[20:21], v[22:23], 1.0
	v_fma_f64 v[18:19], v[22:23], v[18:19], v[22:23]
	v_mul_f64 v[22:23], v[12:13], v[18:19]
	v_fma_f64 v[12:13], -v[20:21], v[22:23], v[12:13]
	v_div_fmas_f64 v[12:13], v[12:13], v[18:19], v[22:23]
	v_div_fixup_f64 v[12:13], v[12:13], |v[14:15]|, |v[16:17]|
	v_fma_f64 v[12:13], v[12:13], v[12:13], 1.0
	v_cmp_gt_f64_e32 vcc, s[16:17], v[12:13]
	s_and_b64 s[2:3], vcc, exec
	s_cselect_b32 s2, 0x100, 0
	v_ldexp_f64 v[12:13], v[12:13], s2
	s_cselect_b32 s2, 0xffffff80, 0
	v_rsq_f64_e32 v[16:17], v[12:13]
	v_cmp_class_f64_e32 vcc, v[12:13], v24
	v_mul_f64 v[18:19], v[12:13], v[16:17]
	v_mul_f64 v[16:17], v[16:17], 0.5
	v_fma_f64 v[20:21], -v[16:17], v[18:19], 0.5
	v_fma_f64 v[18:19], v[18:19], v[20:21], v[18:19]
	v_fma_f64 v[16:17], v[16:17], v[20:21], v[16:17]
	v_fma_f64 v[20:21], -v[18:19], v[18:19], v[12:13]
	v_fma_f64 v[18:19], v[20:21], v[16:17], v[18:19]
	v_fma_f64 v[20:21], -v[18:19], v[18:19], v[12:13]
	v_fma_f64 v[16:17], v[20:21], v[16:17], v[18:19]
	v_ldexp_f64 v[16:17], v[16:17], s2
	v_cndmask_b32_e32 v13, v17, v13, vcc
	v_cndmask_b32_e32 v12, v16, v12, vcc
	v_mul_f64 v[12:13], |v[14:15]|, v[12:13]
.LBB29_134:                             ;   in Loop: Header=BB29_102 Depth=2
	v_add_f64 v[16:17], v[6:7], v[10:11]
	v_cmp_gt_f64_e64 vcc, |v[6:7]|, |v[10:11]|
	v_cmp_ngt_f64_e64 s[2:3], 0, v[16:17]
	v_cndmask_b32_e32 v15, v7, v11, vcc
	v_cndmask_b32_e32 v14, v6, v10, vcc
	;; [unrolled: 1-line block ×4, first 2 shown]
	s_and_b64 vcc, exec, s[2:3]
	s_cbranch_vccz .LBB29_137
; %bb.135:                              ;   in Loop: Header=BB29_102 Depth=2
	v_cmp_nlt_f64_e32 vcc, 0, v[16:17]
	s_cbranch_vccz .LBB29_138
; %bb.136:                              ;   in Loop: Header=BB29_102 Depth=2
	v_mul_f64 v[10:11], v[12:13], 0.5
	v_mul_f64 v[18:19], v[12:13], -0.5
	s_cbranch_execz .LBB29_139
	s_branch .LBB29_140
.LBB29_137:                             ;   in Loop: Header=BB29_102 Depth=2
                                        ; implicit-def: $vgpr18_vgpr19
                                        ; implicit-def: $vgpr10_vgpr11
	s_branch .LBB29_141
.LBB29_138:                             ;   in Loop: Header=BB29_102 Depth=2
                                        ; implicit-def: $vgpr18_vgpr19
                                        ; implicit-def: $vgpr10_vgpr11
.LBB29_139:                             ;   in Loop: Header=BB29_102 Depth=2
	v_add_f64 v[10:11], v[16:17], v[12:13]
	v_mul_f64 v[10:11], v[10:11], 0.5
	v_div_scale_f64 v[18:19], s[2:3], v[10:11], v[10:11], v[6:7]
	v_rcp_f64_e32 v[20:21], v[18:19]
	v_fma_f64 v[22:23], -v[18:19], v[20:21], 1.0
	v_fma_f64 v[20:21], v[20:21], v[22:23], v[20:21]
	v_fma_f64 v[22:23], -v[18:19], v[20:21], 1.0
	v_fma_f64 v[20:21], v[20:21], v[22:23], v[20:21]
	v_div_scale_f64 v[22:23], vcc, v[6:7], v[10:11], v[6:7]
	v_mul_f64 v[25:26], v[22:23], v[20:21]
	v_fma_f64 v[18:19], -v[18:19], v[25:26], v[22:23]
	s_nop 1
	v_div_fmas_f64 v[18:19], v[18:19], v[20:21], v[25:26]
	v_div_scale_f64 v[20:21], s[2:3], v[10:11], v[10:11], v[8:9]
	v_div_fixup_f64 v[18:19], v[18:19], v[10:11], v[6:7]
	v_rcp_f64_e32 v[22:23], v[20:21]
	v_fma_f64 v[25:26], -v[20:21], v[22:23], 1.0
	v_fma_f64 v[22:23], v[22:23], v[25:26], v[22:23]
	v_fma_f64 v[25:26], -v[20:21], v[22:23], 1.0
	v_fma_f64 v[22:23], v[22:23], v[25:26], v[22:23]
	v_div_scale_f64 v[25:26], vcc, v[8:9], v[10:11], v[8:9]
	v_mul_f64 v[27:28], v[25:26], v[22:23]
	v_fma_f64 v[20:21], -v[20:21], v[27:28], v[25:26]
	s_nop 1
	v_div_fmas_f64 v[20:21], v[20:21], v[22:23], v[27:28]
	v_div_fixup_f64 v[20:21], v[20:21], v[10:11], v[8:9]
	v_mul_f64 v[20:21], v[8:9], v[20:21]
	v_fma_f64 v[18:19], v[14:15], v[18:19], -v[20:21]
.LBB29_140:                             ;   in Loop: Header=BB29_102 Depth=2
	s_cbranch_execnz .LBB29_142
.LBB29_141:                             ;   in Loop: Header=BB29_102 Depth=2
	v_add_f64 v[10:11], v[16:17], -v[12:13]
	v_mul_f64 v[10:11], v[10:11], 0.5
	v_div_scale_f64 v[12:13], s[2:3], v[10:11], v[10:11], v[6:7]
	v_div_scale_f64 v[16:17], s[2:3], v[10:11], v[10:11], v[8:9]
	;; [unrolled: 1-line block ×3, first 2 shown]
	v_rcp_f64_e32 v[18:19], v[12:13]
	v_rcp_f64_e32 v[20:21], v[16:17]
	v_fma_f64 v[22:23], -v[12:13], v[18:19], 1.0
	v_fma_f64 v[25:26], -v[16:17], v[20:21], 1.0
	v_fma_f64 v[18:19], v[18:19], v[22:23], v[18:19]
	v_div_scale_f64 v[22:23], vcc, v[6:7], v[10:11], v[6:7]
	v_fma_f64 v[20:21], v[20:21], v[25:26], v[20:21]
	v_fma_f64 v[25:26], -v[12:13], v[18:19], 1.0
	v_fma_f64 v[29:30], -v[16:17], v[20:21], 1.0
	v_fma_f64 v[18:19], v[18:19], v[25:26], v[18:19]
	v_fma_f64 v[20:21], v[20:21], v[29:30], v[20:21]
	v_mul_f64 v[25:26], v[22:23], v[18:19]
	v_mul_f64 v[29:30], v[27:28], v[20:21]
	v_fma_f64 v[12:13], -v[12:13], v[25:26], v[22:23]
	v_fma_f64 v[16:17], -v[16:17], v[29:30], v[27:28]
	v_div_fmas_f64 v[12:13], v[12:13], v[18:19], v[25:26]
	s_mov_b64 vcc, s[2:3]
	v_div_fmas_f64 v[16:17], v[16:17], v[20:21], v[29:30]
	v_div_fixup_f64 v[6:7], v[12:13], v[10:11], v[6:7]
	v_div_fixup_f64 v[16:17], v[16:17], v[10:11], v[8:9]
	v_mul_f64 v[8:9], v[8:9], v[16:17]
	v_fma_f64 v[18:19], v[14:15], v[6:7], -v[8:9]
.LBB29_142:                             ;   in Loop: Header=BB29_102 Depth=2
	v_mov_b32_e32 v3, v2
	global_store_dwordx2 v2, v[10:11], s[38:39]
	global_store_dwordx2 v2, v[18:19], s[42:43]
	;; [unrolled: 1-line block ×3, first 2 shown]
	s_add_i32 s36, s36, -2
	s_cbranch_execz .LBB29_101
	s_branch .LBB29_147
.LBB29_143:                             ;   in Loop: Header=BB29_102 Depth=2
	v_mov_b32_e32 v16, v18
	v_mov_b32_e32 v17, v19
.LBB29_144:                             ;   in Loop: Header=BB29_102 Depth=2
	v_mov_b32_e32 v12, v14
	v_mov_b32_e32 v13, v15
.LBB29_145:                             ;   in Loop: Header=BB29_102 Depth=2
	v_mul_f64 v[10:11], v[12:13], v[10:11]
	v_add_f64 v[8:9], v[8:9], v[16:17]
	s_add_i32 s3, s73, 1
	s_mov_b64 s[44:45], -1
	global_store_dwordx2 v2, v[10:11], s[42:43] offset:-8
	global_store_dwordx2 v2, v[8:9], s[38:39]
	s_and_b64 vcc, exec, s[40:41]
	s_cbranch_vccnz .LBB29_126
.LBB29_146:                             ;   in Loop: Header=BB29_102 Depth=2
	s_mov_b32 s73, s3
	s_and_b64 vcc, exec, s[44:45]
	s_cbranch_vccz .LBB29_101
.LBB29_147:                             ;   in Loop: Header=BB29_102 Depth=2
	s_cmp_lt_i32 s36, s29
	s_cselect_b64 s[2:3], -1, 0
	s_cmp_ge_i32 s73, s60
	s_cselect_b64 s[8:9], -1, 0
	s_or_b64 s[8:9], s[2:3], s[8:9]
	s_branch .LBB29_101
.LBB29_148:
	s_cmp_lt_i32 s33, 2
	s_cbranch_scc1 .LBB29_159
; %bb.149:
	s_load_dwordx2 s[0:1], s[4:5], 0x28
	s_lshl_b64 s[4:5], s[6:7], 2
	s_mov_b32 s2, 1
	v_mov_b32_e32 v0, 0
	s_waitcnt lgkmcnt(0)
	s_add_u32 s0, s0, s4
	s_addc_u32 s1, s1, s5
	s_branch .LBB29_151
.LBB29_150:                             ;   in Loop: Header=BB29_151 Depth=1
	s_add_i32 s2, s2, 1
	s_add_u32 s14, s14, 8
	s_addc_u32 s15, s15, 0
	s_cmp_lg_u32 s33, s2
	s_cbranch_scc0 .LBB29_153
.LBB29_151:                             ; =>This Inner Loop Header: Depth=1
	global_load_dwordx2 v[1:2], v0, s[14:15]
	s_waitcnt vmcnt(0)
	v_cmp_eq_f64_e32 vcc, 0, v[1:2]
	s_cbranch_vccnz .LBB29_150
; %bb.152:                              ;   in Loop: Header=BB29_151 Depth=1
	global_load_dword v1, v0, s[0:1]
	s_waitcnt vmcnt(0)
	v_add_u32_e32 v1, 1, v1
	global_store_dword v0, v1, s[0:1]
	s_branch .LBB29_150
.LBB29_153:
	s_add_u32 s0, s12, s10
	s_addc_u32 s1, s13, s11
	s_add_u32 s0, s0, 8
	s_addc_u32 s1, s1, 0
	s_mov_b32 s2, 1
	v_mov_b32_e32 v4, 0
	s_branch .LBB29_155
.LBB29_154:                             ;   in Loop: Header=BB29_155 Depth=1
	s_add_i32 s2, s2, 1
	s_add_u32 s0, s0, 8
	s_addc_u32 s1, s1, 0
	s_cmp_lg_u32 s2, s33
	s_cbranch_scc0 .LBB29_159
.LBB29_155:                             ; =>This Loop Header: Depth=1
                                        ;     Child Loop BB29_156 Depth 2
	s_ashr_i32 s3, s2, 31
	s_add_i32 s7, s2, -1
	s_lshl_b64 s[4:5], s[2:3], 3
	s_add_u32 s4, s58, s4
	s_addc_u32 s5, s59, s5
	global_load_dwordx2 v[0:1], v4, s[4:5] offset:-8
	s_mov_b64 s[8:9], s[0:1]
	s_mov_b32 s3, s2
	s_mov_b32 s6, s7
	s_waitcnt vmcnt(0)
	v_mov_b32_e32 v3, v1
	v_mov_b32_e32 v2, v0
.LBB29_156:                             ;   Parent Loop BB29_155 Depth=1
                                        ; =>  This Inner Loop Header: Depth=2
	global_load_dwordx2 v[5:6], v4, s[8:9]
	s_waitcnt vmcnt(0)
	v_cmp_lt_f64_e32 vcc, v[5:6], v[2:3]
	s_and_b64 s[10:11], vcc, exec
	s_cselect_b32 s6, s3, s6
	s_add_i32 s3, s3, 1
	s_add_u32 s8, s8, 8
	s_addc_u32 s9, s9, 0
	v_cndmask_b32_e32 v3, v3, v6, vcc
	s_cmp_eq_u32 s33, s3
	v_cndmask_b32_e32 v2, v2, v5, vcc
	s_cbranch_scc0 .LBB29_156
; %bb.157:                              ;   in Loop: Header=BB29_155 Depth=1
	s_cmp_lg_u32 s6, s7
	s_cbranch_scc0 .LBB29_154
; %bb.158:                              ;   in Loop: Header=BB29_155 Depth=1
	s_ashr_i32 s7, s6, 31
	s_lshl_b64 s[6:7], s[6:7], 3
	s_add_u32 s6, s58, s6
	s_addc_u32 s7, s59, s7
	global_store_dwordx2 v4, v[0:1], s[6:7]
	global_store_dwordx2 v4, v[2:3], s[4:5] offset:-8
	s_branch .LBB29_154
.LBB29_159:
	s_endpgm
	.section	.rodata,"a",@progbits
	.p2align	6, 0x0
	.amdhsa_kernel _ZN9rocsolver6v33100L12sterf_kernelIdEEviPT_lS3_lPiS4_iS2_S2_S2_
		.amdhsa_group_segment_fixed_size 0
		.amdhsa_private_segment_fixed_size 0
		.amdhsa_kernarg_size 88
		.amdhsa_user_sgpr_count 6
		.amdhsa_user_sgpr_private_segment_buffer 1
		.amdhsa_user_sgpr_dispatch_ptr 0
		.amdhsa_user_sgpr_queue_ptr 0
		.amdhsa_user_sgpr_kernarg_segment_ptr 1
		.amdhsa_user_sgpr_dispatch_id 0
		.amdhsa_user_sgpr_flat_scratch_init 0
		.amdhsa_user_sgpr_private_segment_size 0
		.amdhsa_uses_dynamic_stack 0
		.amdhsa_system_sgpr_private_segment_wavefront_offset 0
		.amdhsa_system_sgpr_workgroup_id_x 1
		.amdhsa_system_sgpr_workgroup_id_y 0
		.amdhsa_system_sgpr_workgroup_id_z 0
		.amdhsa_system_sgpr_workgroup_info 0
		.amdhsa_system_vgpr_workitem_id 0
		.amdhsa_next_free_vgpr 31
		.amdhsa_next_free_sgpr 74
		.amdhsa_reserve_vcc 1
		.amdhsa_reserve_flat_scratch 0
		.amdhsa_float_round_mode_32 0
		.amdhsa_float_round_mode_16_64 0
		.amdhsa_float_denorm_mode_32 3
		.amdhsa_float_denorm_mode_16_64 3
		.amdhsa_dx10_clamp 1
		.amdhsa_ieee_mode 1
		.amdhsa_fp16_overflow 0
		.amdhsa_exception_fp_ieee_invalid_op 0
		.amdhsa_exception_fp_denorm_src 0
		.amdhsa_exception_fp_ieee_div_zero 0
		.amdhsa_exception_fp_ieee_overflow 0
		.amdhsa_exception_fp_ieee_underflow 0
		.amdhsa_exception_fp_ieee_inexact 0
		.amdhsa_exception_int_div_zero 0
	.end_amdhsa_kernel
	.section	.text._ZN9rocsolver6v33100L12sterf_kernelIdEEviPT_lS3_lPiS4_iS2_S2_S2_,"axG",@progbits,_ZN9rocsolver6v33100L12sterf_kernelIdEEviPT_lS3_lPiS4_iS2_S2_S2_,comdat
.Lfunc_end29:
	.size	_ZN9rocsolver6v33100L12sterf_kernelIdEEviPT_lS3_lPiS4_iS2_S2_S2_, .Lfunc_end29-_ZN9rocsolver6v33100L12sterf_kernelIdEEviPT_lS3_lPiS4_iS2_S2_S2_
                                        ; -- End function
	.set _ZN9rocsolver6v33100L12sterf_kernelIdEEviPT_lS3_lPiS4_iS2_S2_S2_.num_vgpr, 31
	.set _ZN9rocsolver6v33100L12sterf_kernelIdEEviPT_lS3_lPiS4_iS2_S2_S2_.num_agpr, 0
	.set _ZN9rocsolver6v33100L12sterf_kernelIdEEviPT_lS3_lPiS4_iS2_S2_S2_.numbered_sgpr, 74
	.set _ZN9rocsolver6v33100L12sterf_kernelIdEEviPT_lS3_lPiS4_iS2_S2_S2_.num_named_barrier, 0
	.set _ZN9rocsolver6v33100L12sterf_kernelIdEEviPT_lS3_lPiS4_iS2_S2_S2_.private_seg_size, 0
	.set _ZN9rocsolver6v33100L12sterf_kernelIdEEviPT_lS3_lPiS4_iS2_S2_S2_.uses_vcc, 1
	.set _ZN9rocsolver6v33100L12sterf_kernelIdEEviPT_lS3_lPiS4_iS2_S2_S2_.uses_flat_scratch, 0
	.set _ZN9rocsolver6v33100L12sterf_kernelIdEEviPT_lS3_lPiS4_iS2_S2_S2_.has_dyn_sized_stack, 0
	.set _ZN9rocsolver6v33100L12sterf_kernelIdEEviPT_lS3_lPiS4_iS2_S2_S2_.has_recursion, 0
	.set _ZN9rocsolver6v33100L12sterf_kernelIdEEviPT_lS3_lPiS4_iS2_S2_S2_.has_indirect_call, 0
	.section	.AMDGPU.csdata,"",@progbits
; Kernel info:
; codeLenInByte = 8812
; TotalNumSgprs: 78
; NumVgprs: 31
; ScratchSize: 0
; MemoryBound: 0
; FloatMode: 240
; IeeeMode: 1
; LDSByteSize: 0 bytes/workgroup (compile time only)
; SGPRBlocks: 9
; VGPRBlocks: 7
; NumSGPRsForWavesPerEU: 78
; NumVGPRsForWavesPerEU: 31
; Occupancy: 8
; WaveLimiterHint : 0
; COMPUTE_PGM_RSRC2:SCRATCH_EN: 0
; COMPUTE_PGM_RSRC2:USER_SGPR: 6
; COMPUTE_PGM_RSRC2:TRAP_HANDLER: 0
; COMPUTE_PGM_RSRC2:TGID_X_EN: 1
; COMPUTE_PGM_RSRC2:TGID_Y_EN: 0
; COMPUTE_PGM_RSRC2:TGID_Z_EN: 0
; COMPUTE_PGM_RSRC2:TIDIG_COMP_CNT: 0
	.section	.text._ZN9rocsolver6v33100L11lasr_kernelIddPdiEEv13rocblas_side_14rocblas_pivot_15rocblas_direct_T2_S6_PT0_lS8_lT1_lS6_lS6_,"axG",@progbits,_ZN9rocsolver6v33100L11lasr_kernelIddPdiEEv13rocblas_side_14rocblas_pivot_15rocblas_direct_T2_S6_PT0_lS8_lT1_lS6_lS6_,comdat
	.globl	_ZN9rocsolver6v33100L11lasr_kernelIddPdiEEv13rocblas_side_14rocblas_pivot_15rocblas_direct_T2_S6_PT0_lS8_lT1_lS6_lS6_ ; -- Begin function _ZN9rocsolver6v33100L11lasr_kernelIddPdiEEv13rocblas_side_14rocblas_pivot_15rocblas_direct_T2_S6_PT0_lS8_lT1_lS6_lS6_
	.p2align	8
	.type	_ZN9rocsolver6v33100L11lasr_kernelIddPdiEEv13rocblas_side_14rocblas_pivot_15rocblas_direct_T2_S6_PT0_lS8_lT1_lS6_lS6_,@function
_ZN9rocsolver6v33100L11lasr_kernelIddPdiEEv13rocblas_side_14rocblas_pivot_15rocblas_direct_T2_S6_PT0_lS8_lT1_lS6_lS6_: ; @_ZN9rocsolver6v33100L11lasr_kernelIddPdiEEv13rocblas_side_14rocblas_pivot_15rocblas_direct_T2_S6_PT0_lS8_lT1_lS6_lS6_
; %bb.0:
	s_load_dword s33, s[4:5], 0x58
	s_waitcnt lgkmcnt(0)
	s_cmp_ge_u32 s7, s33
	s_cbranch_scc1 .LBB30_108
; %bb.1:
	s_load_dword s24, s[4:5], 0x48
	s_load_dwordx2 s[26:27], s[4:5], 0x68
	s_load_dwordx4 s[20:23], s[4:5], 0x38
	s_load_dwordx4 s[16:19], s[4:5], 0x0
	s_load_dword s90, s[4:5], 0x10
	s_waitcnt lgkmcnt(0)
	s_ashr_i32 s25, s24, 31
	s_and_b32 s45, s27, 0xffff
	s_mul_i32 s6, s6, s45
	s_lshl_b64 s[2:3], s[22:23], 3
	v_add_u32_e32 v0, s6, v0
	s_add_u32 s6, s20, s2
	s_addc_u32 s27, s21, s3
	s_cmpk_eq_i32 s16, 0x8d
	s_cselect_b64 s[0:1], -1, 0
	s_cmpk_eq_i32 s16, 0x8e
	s_cselect_b64 s[8:9], -1, 0
	;; [unrolled: 2-line block ×7, first 2 shown]
	s_and_b64 s[22:23], s[0:1], s[10:11]
	s_and_b64 s[30:31], s[0:1], s[14:15]
	;; [unrolled: 1-line block ×5, first 2 shown]
	s_xor_b64 s[36:37], s[0:1], -1
	s_and_b64 s[0:1], s[8:9], s[10:11]
	s_and_b64 s[10:11], s[0:1], s[40:41]
	;; [unrolled: 1-line block ×3, first 2 shown]
	s_xor_b64 s[0:1], s[0:1], -1
                                        ; implicit-def: $vgpr45 : SGPR spill to VGPR lane
	s_xor_b64 s[38:39], s[10:11], -1
	v_writelane_b32 v45, s0, 0
	v_writelane_b32 v45, s1, 1
	s_and_b64 s[0:1], s[8:9], s[14:15]
	s_and_b64 s[10:11], s[0:1], s[40:41]
	s_xor_b64 s[10:11], s[10:11], -1
	v_writelane_b32 v45, s10, 2
	s_and_b64 s[0:1], s[0:1], s[42:43]
	v_writelane_b32 v45, s11, 3
	s_xor_b64 s[0:1], s[0:1], -1
	v_writelane_b32 v45, s0, 4
	s_and_b64 s[8:9], s[8:9], s[12:13]
	v_writelane_b32 v45, s1, 5
	s_and_b64 s[0:1], s[8:9], s[40:41]
	s_xor_b64 s[0:1], s[0:1], -1
	v_writelane_b32 v45, s0, 6
	v_writelane_b32 v45, s1, 7
	v_cmp_gt_i32_e64 s[0:1], s19, v0
	s_and_b64 s[10:11], s[42:43], s[0:1]
	s_and_b64 s[8:9], s[8:9], s[10:11]
	;; [unrolled: 1-line block ×6, first 2 shown]
	v_writelane_b32 v45, s8, 8
	s_xor_b64 s[16:17], s[16:17], -1
	s_xor_b64 s[22:23], s[22:23], -1
	;; [unrolled: 1-line block ×5, first 2 shown]
	v_writelane_b32 v45, s9, 9
	s_add_i32 s91, s90, -1
	s_add_i32 s50, s90, -2
	s_load_dwordx8 s[8:15], s[4:5], 0x18
	s_cmp_gt_i32 s90, 1
	s_cselect_b64 s[52:53], -1, 0
	s_ashr_i32 s55, s19, 31
	s_add_i32 s40, s19, -2
	s_cmp_gt_i32 s19, 1
	s_mov_b32 s51, 0
	s_cselect_b64 s[56:57], -1, 0
	s_lshl_b64 s[42:43], s[50:51], 3
	s_waitcnt lgkmcnt(0)
	s_add_u32 s18, s8, s42
	s_addc_u32 s92, s9, s43
	s_lshl_b64 s[10:11], s[10:11], 3
	s_load_dword s44, s[4:5], 0x60
	v_writelane_b32 v45, s18, 10
	s_add_u32 s93, s12, s42
	s_mul_i32 s18, s25, s50
	s_mul_hi_u32 s41, s24, s50
	s_addc_u32 s94, s13, s43
	s_add_i32 s43, s41, s18
	s_mul_i32 s42, s24, s50
	s_lshl_b64 s[42:43], s[42:43], 3
	s_lshl_b64 s[14:15], s[14:15], 3
	s_load_dwordx2 s[4:5], s[4:5], 0x50
	s_add_u32 s18, s42, s2
	s_addc_u32 s41, s43, s3
	s_add_u32 s18, s20, s18
	v_ashrrev_i32_e32 v1, 31, v0
	s_waitcnt lgkmcnt(0)
	s_mul_i32 s58, s44, s45
	s_addc_u32 s41, s21, s41
	v_lshlrev_b64 v[1:2], 3, v[0:1]
	s_ashr_i32 s59, s58, 31
	s_lshl_b64 s[60:61], s[4:5], 3
	s_lshl_b64 s[62:63], s[58:59], 3
	;; [unrolled: 1-line block ×3, first 2 shown]
	v_add_co_u32_e32 v18, vcc, s18, v1
	s_sub_u32 s59, 0, s64
	s_mul_i32 s18, s25, s91
	s_mul_hi_u32 s25, s24, s91
	s_mul_i32 s66, s24, s91
	s_subb_u32 s95, 0, s65
	s_add_i32 s43, s25, s18
	s_mov_b32 s42, s66
	s_lshl_b64 s[42:43], s[42:43], 3
	s_add_i32 s25, s90, 1
	v_mov_b32_e32 v3, s41
	s_add_u32 s18, s42, s2
	v_addc_co_u32_e32 v19, vcc, v3, v2, vcc
	s_addc_u32 s41, s43, s3
	v_mov_b32_e32 v3, s27
	v_add_co_u32_e32 v20, vcc, s6, v1
	s_add_u32 s18, s20, s18
	v_addc_co_u32_e32 v21, vcc, v3, v2, vcc
	s_addc_u32 s41, s21, s41
	v_mov_b32_e32 v3, s41
	v_add_co_u32_e32 v22, vcc, s18, v1
	s_add_u32 s18, s2, s64
	v_addc_co_u32_e32 v23, vcc, v3, v2, vcc
	s_addc_u32 s41, s3, s65
	v_mad_i64_i32 v[3:4], s[42:43], s24, v0, 0
	s_add_u32 s18, s20, s18
	s_addc_u32 s41, s21, s41
	v_mov_b32_e32 v5, s41
	v_add_co_u32_e32 v24, vcc, s18, v1
	v_addc_co_u32_e32 v25, vcc, v5, v2, vcc
	v_lshlrev_b64 v[1:2], 3, v[3:4]
	s_mov_b32 s41, s51
	v_mov_b32_e32 v3, s3
	v_add_co_u32_e32 v1, vcc, s2, v1
	s_add_i32 s50, s19, -1
	s_lshl_b64 s[2:3], s[40:41], 3
	s_add_u32 s48, s8, s2
	s_addc_u32 s49, s9, s3
	s_add_u32 s46, s12, s2
	s_addc_u32 s47, s13, s3
	s_add_u32 s2, s20, s2
	v_addc_co_u32_e32 v2, vcc, v2, v3, vcc
	s_addc_u32 s3, s21, s3
	v_mov_b32_e32 v3, s3
	v_add_co_u32_e32 v26, vcc, s2, v1
	s_mul_hi_i32 s3, s24, s58
	s_mul_i32 s2, s24, s58
	v_addc_co_u32_e32 v27, vcc, v3, v2, vcc
	s_lshl_b64 s[68:69], s[2:3], 3
	s_add_i32 s44, s19, 1
	s_lshl_b64 s[2:3], s[50:51], 3
	s_add_u32 s2, s20, s2
	v_mov_b32_e32 v3, s21
	v_add_co_u32_e32 v28, vcc, s20, v1
	s_addc_u32 s3, s21, s3
	v_addc_co_u32_e32 v29, vcc, v3, v2, vcc
	v_mov_b32_e32 v3, s3
	v_add_co_u32_e32 v30, vcc, s2, v1
	v_addc_co_u32_e32 v31, vcc, v3, v2, vcc
	v_add_co_u32_e32 v32, vcc, 8, v28
	v_addc_co_u32_e32 v33, vcc, 0, v29, vcc
	;; [unrolled: 2-line block ×3, first 2 shown]
	s_mul_hi_i32 s67, s24, s91
	s_mov_b32 s54, s19
	v_mov_b32_e32 v36, 0
	v_cmp_gt_i32_e64 s[2:3], s90, v0
	s_branch .LBB30_4
.LBB30_2:                               ;   in Loop: Header=BB30_4 Depth=1
	s_or_b64 exec, exec, s[72:73]
.LBB30_3:                               ;   in Loop: Header=BB30_4 Depth=1
	s_add_i32 s7, s7, s26
	s_cmp_ge_u32 s7, s33
	s_cbranch_scc1 .LBB30_108
.LBB30_4:                               ; =>This Loop Header: Depth=1
                                        ;     Child Loop BB30_19 Depth 2
                                        ;       Child Loop BB30_20 Depth 3
                                        ;     Child Loop BB30_26 Depth 2
                                        ;       Child Loop BB30_27 Depth 3
	;; [unrolled: 2-line block ×12, first 2 shown]
	s_mul_i32 s18, s61, s7
	s_mul_hi_u32 s20, s60, s7
	s_add_i32 s43, s20, s18
	s_mul_i32 s18, s11, s7
	s_mul_hi_u32 s20, s10, s7
	s_add_i32 s40, s20, s18
	s_mul_i32 s41, s10, s7
	s_add_u32 s20, s8, s41
	s_mul_i32 s18, s15, s7
	s_mul_hi_u32 s45, s14, s7
	s_addc_u32 s21, s9, s40
	s_add_i32 s79, s45, s18
	s_mul_i32 s78, s14, s7
	s_add_u32 s70, s12, s78
	s_mul_i32 s18, s5, s7
	s_mul_hi_u32 s45, s4, s7
	s_mul_i32 s42, s60, s7
	s_addc_u32 s71, s13, s79
	s_add_i32 s73, s45, s18
	s_mul_i32 s72, s4, s7
	v_mov_b32_e32 v2, s43
	v_add_co_u32_e32 v1, vcc, s42, v32
	s_lshl_b64 s[72:73], s[72:73], 3
	v_addc_co_u32_e32 v2, vcc, v33, v2, vcc
	s_add_u32 s45, s6, s72
	s_addc_u32 s51, s27, s73
	s_and_b64 vcc, exec, s[16:17]
	s_mov_b64 s[72:73], -1
	s_cbranch_vccnz .LBB30_6
; %bb.5:                                ;   in Loop: Header=BB30_4 Depth=1
	s_andn2_b64 vcc, exec, s[72:73]
	s_cbranch_vccnz .LBB30_3
	s_branch .LBB30_103
.LBB30_6:                               ;   in Loop: Header=BB30_4 Depth=1
	s_add_u32 s72, s48, s41
	s_addc_u32 s73, s49, s40
	s_add_u32 s74, s46, s78
	s_addc_u32 s75, s47, s79
	s_mov_b64 s[76:77], -1
	s_and_b64 vcc, exec, s[22:23]
	s_cbranch_vccz .LBB30_95
; %bb.7:                                ;   in Loop: Header=BB30_4 Depth=1
	s_and_b64 vcc, exec, s[28:29]
	s_cbranch_vccz .LBB30_87
; %bb.8:                                ;   in Loop: Header=BB30_4 Depth=1
	;; [unrolled: 3-line block ×3, first 2 shown]
	s_and_b64 vcc, exec, s[34:35]
	s_cbranch_vccz .LBB30_71
; %bb.10:                               ;   in Loop: Header=BB30_4 Depth=1
	s_and_b64 vcc, exec, s[36:37]
	s_cbranch_vccz .LBB30_63
; %bb.11:                               ;   in Loop: Header=BB30_4 Depth=1
	v_mov_b32_e32 v4, s43
	v_add_co_u32_e32 v3, vcc, s42, v20
	v_addc_co_u32_e32 v4, vcc, v21, v4, vcc
	s_and_b64 vcc, exec, s[38:39]
	s_cbranch_vccz .LBB30_55
; %bb.12:                               ;   in Loop: Header=BB30_4 Depth=1
	v_mov_b32_e32 v6, s43
	v_add_co_u32_e32 v5, vcc, s42, v22
	v_readlane_b32 s18, v45, 10
	v_addc_co_u32_e32 v6, vcc, v23, v6, vcc
	s_add_u32 s76, s18, s41
	s_addc_u32 s77, s92, s40
	v_mov_b32_e32 v8, s43
	v_add_co_u32_e32 v7, vcc, s42, v18
	v_readlane_b32 s40, v45, 0
	s_add_u32 s78, s93, s78
	v_addc_co_u32_e32 v8, vcc, v19, v8, vcc
	v_readlane_b32 s41, v45, 1
	s_addc_u32 s79, s94, s79
	s_mov_b64 s[80:81], -1
	s_and_b64 vcc, exec, s[40:41]
	s_cbranch_vccz .LBB30_46
; %bb.13:                               ;   in Loop: Header=BB30_4 Depth=1
	v_readlane_b32 s40, v45, 2
	v_readlane_b32 s41, v45, 3
	s_and_b64 vcc, exec, s[40:41]
	s_cbranch_vccz .LBB30_38
; %bb.14:                               ;   in Loop: Header=BB30_4 Depth=1
	v_readlane_b32 s40, v45, 4
	v_readlane_b32 s41, v45, 5
	;; [unrolled: 5-line block ×3, first 2 shown]
	s_and_b64 vcc, exec, s[40:41]
	s_cbranch_vccz .LBB30_22
; %bb.16:                               ;   in Loop: Header=BB30_4 Depth=1
	s_mov_b64 s[80:81], exec
	v_readlane_b32 s40, v45, 8
	v_readlane_b32 s41, v45, 9
	s_and_b64 s[40:41], s[80:81], s[40:41]
	s_mov_b64 exec, s[40:41]
	s_cbranch_execz .LBB30_21
; %bb.17:                               ;   in Loop: Header=BB30_4 Depth=1
	s_lshl_b64 s[40:41], s[66:67], 3
	s_add_u32 s40, s45, s40
	v_mov_b32_e32 v10, v8
	s_addc_u32 s41, s51, s41
	s_mov_b64 s[82:83], 0
	v_mov_b32_e32 v9, v7
	v_mov_b32_e32 v11, v0
	s_branch .LBB30_19
.LBB30_18:                              ;   in Loop: Header=BB30_19 Depth=2
	v_add_u32_e32 v11, s58, v11
	v_cmp_le_i32_e32 vcc, s19, v11
	s_waitcnt vmcnt(0)
	global_store_dwordx2 v[12:13], v[14:15], off
	v_mov_b32_e32 v12, s63
	s_or_b64 s[82:83], vcc, s[82:83]
	v_add_co_u32_e32 v9, vcc, s62, v9
	v_addc_co_u32_e32 v10, vcc, v10, v12, vcc
	s_andn2_b64 exec, exec, s[82:83]
	s_cbranch_execz .LBB30_21
.LBB30_19:                              ;   Parent Loop BB30_4 Depth=1
                                        ; =>  This Loop Header: Depth=2
                                        ;       Child Loop BB30_20 Depth 3
	v_ashrrev_i32_e32 v12, 31, v11
	v_lshlrev_b64 v[12:13], 3, v[11:12]
	v_mov_b32_e32 v14, s41
	v_add_co_u32_e32 v12, vcc, s40, v12
	v_addc_co_u32_e32 v13, vcc, v14, v13, vcc
	global_load_dwordx2 v[14:15], v[12:13], off
	v_mov_b32_e32 v17, v10
	s_andn2_b64 vcc, exec, s[52:53]
	v_mov_b32_e32 v16, v9
	s_mov_b64 s[84:85], s[78:79]
	s_mov_b64 s[86:87], s[76:77]
	s_mov_b32 s18, s91
	s_cbranch_vccnz .LBB30_18
.LBB30_20:                              ;   Parent Loop BB30_4 Depth=1
                                        ;     Parent Loop BB30_19 Depth=2
                                        ; =>    This Inner Loop Header: Depth=3
	global_load_dwordx2 v[37:38], v[16:17], off
	global_load_dwordx2 v[39:40], v36, s[86:87]
	global_load_dwordx2 v[41:42], v36, s[84:85]
	s_add_i32 s18, s18, -1
	s_add_u32 s86, s86, -8
	s_addc_u32 s87, s87, -1
	s_add_u32 s84, s84, -8
	s_addc_u32 s85, s85, -1
	s_cmp_eq_u32 s18, 0
	s_waitcnt vmcnt(1)
	v_mul_f64 v[43:44], v[39:40], v[37:38]
	s_waitcnt vmcnt(0)
	v_mul_f64 v[37:38], v[41:42], v[37:38]
	v_fma_f64 v[41:42], v[14:15], v[41:42], v[43:44]
	v_fma_f64 v[14:15], v[14:15], v[39:40], -v[37:38]
	v_mov_b32_e32 v43, s95
	global_store_dwordx2 v[16:17], v[41:42], off
	v_add_co_u32_e32 v16, vcc, s59, v16
	v_addc_co_u32_e32 v17, vcc, v17, v43, vcc
	s_cbranch_scc0 .LBB30_20
	s_branch .LBB30_18
.LBB30_21:                              ;   in Loop: Header=BB30_4 Depth=1
	s_or_b64 exec, exec, s[80:81]
	s_mov_b64 s[80:81], 0
.LBB30_22:                              ;   in Loop: Header=BB30_4 Depth=1
	s_andn2_b64 vcc, exec, s[80:81]
	s_cbranch_vccnz .LBB30_29
; %bb.23:                               ;   in Loop: Header=BB30_4 Depth=1
	s_and_saveexec_b64 s[80:81], s[0:1]
	s_cbranch_execz .LBB30_28
; %bb.24:                               ;   in Loop: Header=BB30_4 Depth=1
	s_lshl_b64 s[40:41], s[66:67], 3
	s_add_u32 s40, s45, s40
	v_mov_b32_e32 v10, v4
	s_addc_u32 s41, s51, s41
	s_mov_b64 s[82:83], 0
	v_mov_b32_e32 v9, v3
	v_mov_b32_e32 v11, v0
	s_branch .LBB30_26
.LBB30_25:                              ;   in Loop: Header=BB30_26 Depth=2
	v_add_u32_e32 v11, s58, v11
	v_cmp_le_i32_e32 vcc, s19, v11
	s_waitcnt vmcnt(0)
	global_store_dwordx2 v[12:13], v[14:15], off
	v_mov_b32_e32 v12, s63
	s_or_b64 s[82:83], vcc, s[82:83]
	v_add_co_u32_e32 v9, vcc, s62, v9
	v_addc_co_u32_e32 v10, vcc, v10, v12, vcc
	s_andn2_b64 exec, exec, s[82:83]
	s_cbranch_execz .LBB30_28
.LBB30_26:                              ;   Parent Loop BB30_4 Depth=1
                                        ; =>  This Loop Header: Depth=2
                                        ;       Child Loop BB30_27 Depth 3
	v_ashrrev_i32_e32 v12, 31, v11
	v_lshlrev_b64 v[12:13], 3, v[11:12]
	v_mov_b32_e32 v14, s41
	v_add_co_u32_e32 v12, vcc, s40, v12
	v_addc_co_u32_e32 v13, vcc, v14, v13, vcc
	global_load_dwordx2 v[14:15], v[12:13], off
	v_mov_b32_e32 v17, v10
	s_andn2_b64 vcc, exec, s[52:53]
	v_mov_b32_e32 v16, v9
	s_mov_b64 s[84:85], s[70:71]
	s_mov_b64 s[86:87], s[20:21]
	s_mov_b32 s18, s91
	s_cbranch_vccnz .LBB30_25
.LBB30_27:                              ;   Parent Loop BB30_4 Depth=1
                                        ;     Parent Loop BB30_26 Depth=2
                                        ; =>    This Inner Loop Header: Depth=3
	global_load_dwordx2 v[37:38], v[16:17], off
	global_load_dwordx2 v[39:40], v36, s[86:87]
	global_load_dwordx2 v[41:42], v36, s[84:85]
	s_add_i32 s18, s18, -1
	s_add_u32 s86, s86, 8
	s_addc_u32 s87, s87, 0
	s_add_u32 s84, s84, 8
	s_addc_u32 s85, s85, 0
	s_cmp_eq_u32 s18, 0
	s_waitcnt vmcnt(1)
	v_mul_f64 v[43:44], v[39:40], v[37:38]
	s_waitcnt vmcnt(0)
	v_mul_f64 v[37:38], v[41:42], v[37:38]
	v_fma_f64 v[41:42], v[14:15], v[41:42], v[43:44]
	v_fma_f64 v[14:15], v[14:15], v[39:40], -v[37:38]
	v_mov_b32_e32 v43, s65
	global_store_dwordx2 v[16:17], v[41:42], off
	v_add_co_u32_e32 v16, vcc, s64, v16
	v_addc_co_u32_e32 v17, vcc, v17, v43, vcc
	s_cbranch_scc0 .LBB30_27
	s_branch .LBB30_25
.LBB30_28:                              ;   in Loop: Header=BB30_4 Depth=1
	s_or_b64 exec, exec, s[80:81]
.LBB30_29:                              ;   in Loop: Header=BB30_4 Depth=1
	s_mov_b64 s[80:81], 0
.LBB30_30:                              ;   in Loop: Header=BB30_4 Depth=1
	s_andn2_b64 vcc, exec, s[80:81]
	s_cbranch_vccnz .LBB30_37
; %bb.31:                               ;   in Loop: Header=BB30_4 Depth=1
	s_and_saveexec_b64 s[80:81], s[0:1]
	s_cbranch_execz .LBB30_36
; %bb.32:                               ;   in Loop: Header=BB30_4 Depth=1
	v_mov_b32_e32 v10, v6
	s_mov_b64 s[82:83], 0
	v_mov_b32_e32 v9, v5
	v_mov_b32_e32 v11, v0
	s_branch .LBB30_34
.LBB30_33:                              ;   in Loop: Header=BB30_34 Depth=2
	v_add_u32_e32 v11, s58, v11
	v_cmp_le_i32_e32 vcc, s19, v11
	s_waitcnt vmcnt(0)
	global_store_dwordx2 v[12:13], v[14:15], off
	v_mov_b32_e32 v12, s63
	s_or_b64 s[82:83], vcc, s[82:83]
	v_add_co_u32_e32 v9, vcc, s62, v9
	v_addc_co_u32_e32 v10, vcc, v10, v12, vcc
	s_andn2_b64 exec, exec, s[82:83]
	s_cbranch_execz .LBB30_36
.LBB30_34:                              ;   Parent Loop BB30_4 Depth=1
                                        ; =>  This Loop Header: Depth=2
                                        ;       Child Loop BB30_35 Depth 3
	v_ashrrev_i32_e32 v12, 31, v11
	v_lshlrev_b64 v[12:13], 3, v[11:12]
	v_mov_b32_e32 v14, s51
	v_add_co_u32_e32 v12, vcc, s45, v12
	v_addc_co_u32_e32 v13, vcc, v14, v13, vcc
	global_load_dwordx2 v[14:15], v[12:13], off
	v_mov_b32_e32 v17, v10
	s_andn2_b64 vcc, exec, s[52:53]
	v_mov_b32_e32 v16, v9
	s_mov_b64 s[84:85], s[78:79]
	s_mov_b64 s[86:87], s[76:77]
	s_mov_b32 s40, s25
	s_cbranch_vccnz .LBB30_33
.LBB30_35:                              ;   Parent Loop BB30_4 Depth=1
                                        ;     Parent Loop BB30_34 Depth=2
                                        ; =>    This Inner Loop Header: Depth=3
	global_load_dwordx2 v[37:38], v36, s[84:85]
	global_load_dwordx2 v[39:40], v[16:17], off
	global_load_dwordx2 v[41:42], v36, s[86:87]
	s_add_i32 s40, s40, -1
	s_add_u32 s86, s86, -8
	s_addc_u32 s87, s87, -1
	s_add_u32 s84, s84, -8
	s_addc_u32 s85, s85, -1
	s_cmp_lt_u32 s40, 3
	s_waitcnt vmcnt(2)
	v_mul_f64 v[43:44], v[14:15], v[37:38]
	s_waitcnt vmcnt(1)
	v_mul_f64 v[37:38], v[37:38], v[39:40]
	s_waitcnt vmcnt(0)
	v_fma_f64 v[39:40], v[41:42], v[39:40], -v[43:44]
	v_fma_f64 v[14:15], v[14:15], v[41:42], v[37:38]
	v_mov_b32_e32 v43, s95
	global_store_dwordx2 v[16:17], v[39:40], off
	v_add_co_u32_e32 v16, vcc, s59, v16
	v_addc_co_u32_e32 v17, vcc, v17, v43, vcc
	s_cbranch_scc0 .LBB30_35
	s_branch .LBB30_33
.LBB30_36:                              ;   in Loop: Header=BB30_4 Depth=1
	s_or_b64 exec, exec, s[80:81]
.LBB30_37:                              ;   in Loop: Header=BB30_4 Depth=1
	s_mov_b64 s[80:81], 0
.LBB30_38:                              ;   in Loop: Header=BB30_4 Depth=1
	s_andn2_b64 vcc, exec, s[80:81]
	s_cbranch_vccnz .LBB30_45
; %bb.39:                               ;   in Loop: Header=BB30_4 Depth=1
	s_and_saveexec_b64 s[80:81], s[0:1]
	s_cbranch_execz .LBB30_44
; %bb.40:                               ;   in Loop: Header=BB30_4 Depth=1
	v_mov_b32_e32 v10, s43
	v_add_co_u32_e32 v9, vcc, s42, v24
	v_addc_co_u32_e32 v10, vcc, v25, v10, vcc
	s_mov_b64 s[82:83], 0
	v_mov_b32_e32 v11, v0
	s_branch .LBB30_42
.LBB30_41:                              ;   in Loop: Header=BB30_42 Depth=2
	v_add_u32_e32 v11, s58, v11
	v_cmp_le_i32_e32 vcc, s19, v11
	s_waitcnt vmcnt(0)
	global_store_dwordx2 v[12:13], v[14:15], off
	v_mov_b32_e32 v12, s63
	s_or_b64 s[82:83], vcc, s[82:83]
	v_add_co_u32_e32 v9, vcc, s62, v9
	v_addc_co_u32_e32 v10, vcc, v10, v12, vcc
	s_andn2_b64 exec, exec, s[82:83]
	s_cbranch_execz .LBB30_44
.LBB30_42:                              ;   Parent Loop BB30_4 Depth=1
                                        ; =>  This Loop Header: Depth=2
                                        ;       Child Loop BB30_43 Depth 3
	v_ashrrev_i32_e32 v12, 31, v11
	v_lshlrev_b64 v[12:13], 3, v[11:12]
	v_mov_b32_e32 v14, s51
	v_add_co_u32_e32 v12, vcc, s45, v12
	v_addc_co_u32_e32 v13, vcc, v14, v13, vcc
	global_load_dwordx2 v[14:15], v[12:13], off
	v_mov_b32_e32 v17, v10
	s_andn2_b64 vcc, exec, s[52:53]
	v_mov_b32_e32 v16, v9
	s_mov_b32 s40, s91
	s_mov_b64 s[84:85], s[20:21]
	s_mov_b64 s[86:87], s[70:71]
	s_cbranch_vccnz .LBB30_41
.LBB30_43:                              ;   Parent Loop BB30_4 Depth=1
                                        ;     Parent Loop BB30_42 Depth=2
                                        ; =>    This Inner Loop Header: Depth=3
	global_load_dwordx2 v[37:38], v36, s[86:87]
	global_load_dwordx2 v[39:40], v[16:17], off
	global_load_dwordx2 v[41:42], v36, s[84:85]
	s_add_u32 s86, s86, 8
	s_addc_u32 s87, s87, 0
	s_add_u32 s84, s84, 8
	s_addc_u32 s85, s85, 0
	s_add_i32 s40, s40, -1
	s_cmp_eq_u32 s40, 0
	s_waitcnt vmcnt(2)
	v_mul_f64 v[43:44], v[14:15], v[37:38]
	s_waitcnt vmcnt(1)
	v_mul_f64 v[37:38], v[37:38], v[39:40]
	s_waitcnt vmcnt(0)
	v_fma_f64 v[39:40], v[41:42], v[39:40], -v[43:44]
	v_fma_f64 v[14:15], v[14:15], v[41:42], v[37:38]
	v_mov_b32_e32 v43, s65
	global_store_dwordx2 v[16:17], v[39:40], off
	v_add_co_u32_e32 v16, vcc, s64, v16
	v_addc_co_u32_e32 v17, vcc, v17, v43, vcc
	s_cbranch_scc0 .LBB30_43
	s_branch .LBB30_41
.LBB30_44:                              ;   in Loop: Header=BB30_4 Depth=1
	s_or_b64 exec, exec, s[80:81]
.LBB30_45:                              ;   in Loop: Header=BB30_4 Depth=1
	s_mov_b64 s[80:81], 0
.LBB30_46:                              ;   in Loop: Header=BB30_4 Depth=1
	s_andn2_b64 vcc, exec, s[80:81]
	s_cbranch_vccnz .LBB30_54
; %bb.47:                               ;   in Loop: Header=BB30_4 Depth=1
	s_and_saveexec_b64 s[80:81], s[0:1]
	s_cbranch_execz .LBB30_53
; %bb.48:                               ;   in Loop: Header=BB30_4 Depth=1
	s_lshl_b64 s[40:41], s[66:67], 3
	s_add_u32 s40, s45, s40
	s_addc_u32 s41, s51, s41
	s_mov_b64 s[82:83], 0
	v_mov_b32_e32 v9, v0
	s_branch .LBB30_50
.LBB30_49:                              ;   in Loop: Header=BB30_50 Depth=2
	v_mov_b32_e32 v14, s51
	v_add_co_u32_e32 v10, vcc, s45, v10
	v_addc_co_u32_e32 v11, vcc, v14, v11, vcc
	s_waitcnt vmcnt(0)
	global_store_dwordx2 v[10:11], v[12:13], off
	v_mov_b32_e32 v10, s63
	v_add_co_u32_e32 v5, vcc, s62, v5
	v_add_u32_e32 v9, s58, v9
	v_addc_co_u32_e32 v6, vcc, v6, v10, vcc
	v_cmp_le_i32_e32 vcc, s19, v9
	s_or_b64 s[82:83], vcc, s[82:83]
	v_add_co_u32_e32 v7, vcc, s62, v7
	v_addc_co_u32_e32 v8, vcc, v8, v10, vcc
	s_andn2_b64 exec, exec, s[82:83]
	s_cbranch_execz .LBB30_53
.LBB30_50:                              ;   Parent Loop BB30_4 Depth=1
                                        ; =>  This Loop Header: Depth=2
                                        ;       Child Loop BB30_52 Depth 3
	v_ashrrev_i32_e32 v10, 31, v9
	v_lshlrev_b64 v[10:11], 3, v[9:10]
	v_mov_b32_e32 v13, s41
	v_add_co_u32_e32 v12, vcc, s40, v10
	v_addc_co_u32_e32 v13, vcc, v13, v11, vcc
	global_load_dwordx2 v[12:13], v[12:13], off
	s_andn2_b64 vcc, exec, s[52:53]
	s_cbranch_vccnz .LBB30_49
; %bb.51:                               ;   in Loop: Header=BB30_50 Depth=2
	s_mov_b64 s[84:85], 0
	s_mov_b64 s[86:87], s[78:79]
	;; [unrolled: 1-line block ×3, first 2 shown]
	s_mov_b32 s18, s91
.LBB30_52:                              ;   Parent Loop BB30_4 Depth=1
                                        ;     Parent Loop BB30_50 Depth=2
                                        ; =>    This Inner Loop Header: Depth=3
	v_mov_b32_e32 v42, s85
	v_add_co_u32_e32 v16, vcc, s84, v7
	v_addc_co_u32_e32 v17, vcc, v8, v42, vcc
	global_load_dwordx2 v[14:15], v36, s[86:87]
	s_nop 0
	global_load_dwordx2 v[16:17], v[16:17], off
	s_nop 0
	global_load_dwordx2 v[37:38], v36, s[88:89]
	s_add_i32 s18, s18, -1
	v_add_co_u32_e32 v41, vcc, s84, v5
	s_sub_u32 s84, s84, s64
	s_subb_u32 s85, s85, s65
	s_add_u32 s88, s88, -8
	s_addc_u32 s89, s89, -1
	s_add_u32 s86, s86, -8
	s_addc_u32 s87, s87, -1
	v_addc_co_u32_e32 v42, vcc, v6, v42, vcc
	s_cmp_eq_u32 s18, 0
	s_waitcnt vmcnt(1)
	v_mul_f64 v[39:40], v[14:15], v[16:17]
	s_waitcnt vmcnt(0)
	v_mul_f64 v[16:17], v[37:38], v[16:17]
	v_fma_f64 v[37:38], v[12:13], v[37:38], -v[39:40]
	v_fma_f64 v[12:13], v[12:13], v[14:15], v[16:17]
	global_store_dwordx2 v[41:42], v[37:38], off
	s_cbranch_scc0 .LBB30_52
	s_branch .LBB30_49
.LBB30_53:                              ;   in Loop: Header=BB30_4 Depth=1
	s_or_b64 exec, exec, s[80:81]
.LBB30_54:                              ;   in Loop: Header=BB30_4 Depth=1
	s_mov_b64 s[76:77], 0
.LBB30_55:                              ;   in Loop: Header=BB30_4 Depth=1
	s_andn2_b64 vcc, exec, s[76:77]
	s_cbranch_vccnz .LBB30_62
; %bb.56:                               ;   in Loop: Header=BB30_4 Depth=1
	s_and_saveexec_b64 s[76:77], s[0:1]
	s_cbranch_execz .LBB30_61
; %bb.57:                               ;   in Loop: Header=BB30_4 Depth=1
	s_lshl_b64 s[40:41], s[66:67], 3
	s_add_u32 s40, s45, s40
	s_addc_u32 s41, s51, s41
	s_mov_b64 s[78:79], 0
	v_mov_b32_e32 v5, v0
	s_branch .LBB30_59
.LBB30_58:                              ;   in Loop: Header=BB30_59 Depth=2
	v_mov_b32_e32 v10, s41
	v_add_co_u32_e32 v6, vcc, s40, v6
	v_addc_co_u32_e32 v7, vcc, v10, v7, vcc
	v_add_u32_e32 v5, s58, v5
	v_cmp_le_i32_e32 vcc, s19, v5
	s_waitcnt vmcnt(0)
	global_store_dwordx2 v[6:7], v[8:9], off
	v_mov_b32_e32 v6, s63
	s_or_b64 s[78:79], vcc, s[78:79]
	v_add_co_u32_e32 v3, vcc, s62, v3
	v_addc_co_u32_e32 v4, vcc, v4, v6, vcc
	s_andn2_b64 exec, exec, s[78:79]
	s_cbranch_execz .LBB30_61
.LBB30_59:                              ;   Parent Loop BB30_4 Depth=1
                                        ; =>  This Loop Header: Depth=2
                                        ;       Child Loop BB30_60 Depth 3
	v_ashrrev_i32_e32 v6, 31, v5
	v_lshlrev_b64 v[6:7], 3, v[5:6]
	v_mov_b32_e32 v9, s51
	v_add_co_u32_e32 v8, vcc, s45, v6
	v_addc_co_u32_e32 v9, vcc, v9, v7, vcc
	global_load_dwordx2 v[8:9], v[8:9], off
	v_mov_b32_e32 v11, v4
	s_andn2_b64 vcc, exec, s[52:53]
	s_mov_b64 s[80:81], s[70:71]
	s_mov_b64 s[82:83], s[20:21]
	v_mov_b32_e32 v10, v3
	s_mov_b32 s18, s91
	s_cbranch_vccnz .LBB30_58
.LBB30_60:                              ;   Parent Loop BB30_4 Depth=1
                                        ;     Parent Loop BB30_59 Depth=2
                                        ; =>    This Inner Loop Header: Depth=3
	v_mov_b32_e32 v13, s65
	v_add_co_u32_e32 v12, vcc, s64, v10
	v_addc_co_u32_e32 v13, vcc, v11, v13, vcc
	global_load_dwordx2 v[14:15], v[12:13], off
	global_load_dwordx2 v[16:17], v36, s[80:81]
	global_load_dwordx2 v[37:38], v36, s[82:83]
	s_add_i32 s18, s18, -1
	s_add_u32 s82, s82, 8
	s_addc_u32 s83, s83, 0
	s_add_u32 s80, s80, 8
	s_addc_u32 s81, s81, 0
	s_cmp_eq_u32 s18, 0
	s_waitcnt vmcnt(1)
	v_mul_f64 v[39:40], v[16:17], v[14:15]
	v_mul_f64 v[16:17], v[8:9], v[16:17]
	s_waitcnt vmcnt(0)
	v_fma_f64 v[39:40], v[8:9], v[37:38], v[39:40]
	v_fma_f64 v[8:9], v[37:38], v[14:15], -v[16:17]
	global_store_dwordx2 v[10:11], v[39:40], off
	v_mov_b32_e32 v10, v12
	v_mov_b32_e32 v11, v13
	s_cbranch_scc0 .LBB30_60
	s_branch .LBB30_58
.LBB30_61:                              ;   in Loop: Header=BB30_4 Depth=1
	s_or_b64 exec, exec, s[76:77]
.LBB30_62:                              ;   in Loop: Header=BB30_4 Depth=1
	s_mov_b64 s[76:77], 0
.LBB30_63:                              ;   in Loop: Header=BB30_4 Depth=1
	s_andn2_b64 vcc, exec, s[76:77]
	s_cbranch_vccnz .LBB30_70
; %bb.64:                               ;   in Loop: Header=BB30_4 Depth=1
	s_and_saveexec_b64 s[76:77], s[2:3]
	s_cbranch_execz .LBB30_69
; %bb.65:                               ;   in Loop: Header=BB30_4 Depth=1
	s_lshl_b64 s[40:41], s[54:55], 3
	v_mov_b32_e32 v4, s43
	v_add_co_u32_e32 v3, vcc, s42, v26
	s_add_u32 s40, s45, s40
	v_addc_co_u32_e32 v4, vcc, v27, v4, vcc
	s_addc_u32 s41, s51, s41
	s_mov_b64 s[78:79], 0
	v_mov_b32_e32 v11, v0
	s_branch .LBB30_67
.LBB30_66:                              ;   in Loop: Header=BB30_67 Depth=2
	v_add_u32_e32 v11, s58, v11
	v_cmp_le_i32_e32 vcc, s90, v11
	s_waitcnt vmcnt(0)
	global_store_dwordx2 v[5:6], v[7:8], off offset:-8
	v_mov_b32_e32 v5, s69
	s_or_b64 s[78:79], vcc, s[78:79]
	v_add_co_u32_e32 v3, vcc, s68, v3
	v_addc_co_u32_e32 v4, vcc, v4, v5, vcc
	s_andn2_b64 exec, exec, s[78:79]
	s_cbranch_execz .LBB30_69
.LBB30_67:                              ;   Parent Loop BB30_4 Depth=1
                                        ; =>  This Loop Header: Depth=2
                                        ;       Child Loop BB30_68 Depth 3
	v_mad_i64_i32 v[5:6], s[80:81], v11, s24, 0
	v_mov_b32_e32 v7, s41
	v_mov_b32_e32 v10, v4
	v_lshlrev_b64 v[5:6], 3, v[5:6]
	v_mov_b32_e32 v9, v3
	v_add_co_u32_e32 v5, vcc, s40, v5
	v_addc_co_u32_e32 v6, vcc, v7, v6, vcc
	global_load_dwordx2 v[7:8], v[5:6], off offset:-8
	s_andn2_b64 vcc, exec, s[56:57]
	s_mov_b64 s[80:81], s[74:75]
	s_mov_b64 s[82:83], s[72:73]
	s_mov_b32 s18, s50
	s_cbranch_vccnz .LBB30_66
.LBB30_68:                              ;   Parent Loop BB30_4 Depth=1
                                        ;     Parent Loop BB30_67 Depth=2
                                        ; =>    This Inner Loop Header: Depth=3
	global_load_dwordx2 v[12:13], v[9:10], off
	global_load_dwordx2 v[14:15], v36, s[82:83]
	global_load_dwordx2 v[16:17], v36, s[80:81]
	s_add_i32 s18, s18, -1
	s_add_u32 s82, s82, -8
	s_addc_u32 s83, s83, -1
	s_add_u32 s80, s80, -8
	s_addc_u32 s81, s81, -1
	s_cmp_eq_u32 s18, 0
	s_waitcnt vmcnt(1)
	v_mul_f64 v[37:38], v[14:15], v[12:13]
	s_waitcnt vmcnt(0)
	v_mul_f64 v[12:13], v[16:17], v[12:13]
	v_fma_f64 v[16:17], v[7:8], v[16:17], v[37:38]
	v_fma_f64 v[7:8], v[7:8], v[14:15], -v[12:13]
	global_store_dwordx2 v[9:10], v[16:17], off
	v_add_co_u32_e32 v9, vcc, -8, v9
	v_addc_co_u32_e32 v10, vcc, -1, v10, vcc
	s_cbranch_scc0 .LBB30_68
	s_branch .LBB30_66
.LBB30_69:                              ;   in Loop: Header=BB30_4 Depth=1
	s_or_b64 exec, exec, s[76:77]
.LBB30_70:                              ;   in Loop: Header=BB30_4 Depth=1
	s_mov_b64 s[76:77], 0
.LBB30_71:                              ;   in Loop: Header=BB30_4 Depth=1
	s_andn2_b64 vcc, exec, s[76:77]
	s_cbranch_vccnz .LBB30_78
; %bb.72:                               ;   in Loop: Header=BB30_4 Depth=1
	s_and_saveexec_b64 s[76:77], s[2:3]
	s_cbranch_execz .LBB30_77
; %bb.73:                               ;   in Loop: Header=BB30_4 Depth=1
	s_lshl_b64 s[40:41], s[54:55], 3
	v_mov_b32_e32 v4, s43
	v_add_co_u32_e32 v3, vcc, s42, v28
	s_add_u32 s40, s45, s40
	v_addc_co_u32_e32 v4, vcc, v29, v4, vcc
	s_addc_u32 s41, s51, s41
	s_mov_b64 s[78:79], 0
	v_mov_b32_e32 v11, v0
	s_branch .LBB30_75
.LBB30_74:                              ;   in Loop: Header=BB30_75 Depth=2
	v_add_u32_e32 v11, s58, v11
	v_cmp_le_i32_e32 vcc, s90, v11
	s_waitcnt vmcnt(0)
	global_store_dwordx2 v[5:6], v[7:8], off offset:-8
	v_mov_b32_e32 v5, s69
	s_or_b64 s[78:79], vcc, s[78:79]
	v_add_co_u32_e32 v3, vcc, s68, v3
	v_addc_co_u32_e32 v4, vcc, v4, v5, vcc
	s_andn2_b64 exec, exec, s[78:79]
	s_cbranch_execz .LBB30_77
.LBB30_75:                              ;   Parent Loop BB30_4 Depth=1
                                        ; =>  This Loop Header: Depth=2
                                        ;       Child Loop BB30_76 Depth 3
	v_mad_i64_i32 v[5:6], s[80:81], v11, s24, 0
	v_mov_b32_e32 v7, s41
	v_mov_b32_e32 v10, v4
	v_lshlrev_b64 v[5:6], 3, v[5:6]
	v_mov_b32_e32 v9, v3
	v_add_co_u32_e32 v5, vcc, s40, v5
	v_addc_co_u32_e32 v6, vcc, v7, v6, vcc
	global_load_dwordx2 v[7:8], v[5:6], off offset:-8
	s_andn2_b64 vcc, exec, s[56:57]
	s_mov_b64 s[80:81], s[70:71]
	s_mov_b64 s[82:83], s[20:21]
	s_mov_b32 s18, s50
	s_cbranch_vccnz .LBB30_74
.LBB30_76:                              ;   Parent Loop BB30_4 Depth=1
                                        ;     Parent Loop BB30_75 Depth=2
                                        ; =>    This Inner Loop Header: Depth=3
	global_load_dwordx2 v[12:13], v[9:10], off
	global_load_dwordx2 v[14:15], v36, s[82:83]
	global_load_dwordx2 v[16:17], v36, s[80:81]
	s_add_i32 s18, s18, -1
	s_add_u32 s82, s82, 8
	s_addc_u32 s83, s83, 0
	s_add_u32 s80, s80, 8
	s_addc_u32 s81, s81, 0
	s_cmp_eq_u32 s18, 0
	s_waitcnt vmcnt(1)
	v_mul_f64 v[37:38], v[14:15], v[12:13]
	s_waitcnt vmcnt(0)
	v_mul_f64 v[12:13], v[16:17], v[12:13]
	v_fma_f64 v[16:17], v[7:8], v[16:17], v[37:38]
	v_fma_f64 v[7:8], v[7:8], v[14:15], -v[12:13]
	global_store_dwordx2 v[9:10], v[16:17], off
	v_add_co_u32_e32 v9, vcc, 8, v9
	v_addc_co_u32_e32 v10, vcc, 0, v10, vcc
	s_cbranch_scc0 .LBB30_76
	s_branch .LBB30_74
.LBB30_77:                              ;   in Loop: Header=BB30_4 Depth=1
	s_or_b64 exec, exec, s[76:77]
.LBB30_78:                              ;   in Loop: Header=BB30_4 Depth=1
	s_mov_b64 s[76:77], 0
.LBB30_79:                              ;   in Loop: Header=BB30_4 Depth=1
	s_andn2_b64 vcc, exec, s[76:77]
	s_cbranch_vccnz .LBB30_86
; %bb.80:                               ;   in Loop: Header=BB30_4 Depth=1
	s_and_saveexec_b64 s[76:77], s[2:3]
	s_cbranch_execz .LBB30_85
; %bb.81:                               ;   in Loop: Header=BB30_4 Depth=1
	v_mov_b32_e32 v4, s43
	v_add_co_u32_e32 v3, vcc, s42, v30
	v_addc_co_u32_e32 v4, vcc, v31, v4, vcc
	s_mov_b64 s[78:79], 0
	v_mov_b32_e32 v11, v0
	s_branch .LBB30_83
.LBB30_82:                              ;   in Loop: Header=BB30_83 Depth=2
	v_add_u32_e32 v11, s58, v11
	v_cmp_le_i32_e32 vcc, s90, v11
	s_waitcnt vmcnt(0)
	global_store_dwordx2 v[5:6], v[7:8], off
	v_mov_b32_e32 v5, s69
	s_or_b64 s[78:79], vcc, s[78:79]
	v_add_co_u32_e32 v3, vcc, s68, v3
	v_addc_co_u32_e32 v4, vcc, v4, v5, vcc
	s_andn2_b64 exec, exec, s[78:79]
	s_cbranch_execz .LBB30_85
.LBB30_83:                              ;   Parent Loop BB30_4 Depth=1
                                        ; =>  This Loop Header: Depth=2
                                        ;       Child Loop BB30_84 Depth 3
	v_mad_i64_i32 v[5:6], s[40:41], v11, s24, 0
	v_mov_b32_e32 v7, s51
	v_mov_b32_e32 v10, v4
	v_lshlrev_b64 v[5:6], 3, v[5:6]
	v_mov_b32_e32 v9, v3
	v_add_co_u32_e32 v5, vcc, s45, v5
	v_addc_co_u32_e32 v6, vcc, v7, v6, vcc
	global_load_dwordx2 v[7:8], v[5:6], off
	s_andn2_b64 vcc, exec, s[56:57]
	s_mov_b64 s[80:81], s[74:75]
	s_mov_b64 s[82:83], s[72:73]
	s_mov_b32 s18, s44
	s_cbranch_vccnz .LBB30_82
.LBB30_84:                              ;   Parent Loop BB30_4 Depth=1
                                        ;     Parent Loop BB30_83 Depth=2
                                        ; =>    This Inner Loop Header: Depth=3
	global_load_dwordx2 v[12:13], v36, s[80:81]
	global_load_dwordx2 v[14:15], v[9:10], off
	global_load_dwordx2 v[16:17], v36, s[82:83]
	s_add_i32 s18, s18, -1
	s_add_u32 s82, s82, -8
	s_addc_u32 s83, s83, -1
	s_add_u32 s80, s80, -8
	s_addc_u32 s81, s81, -1
	s_cmp_lt_u32 s18, 3
	s_waitcnt vmcnt(2)
	v_mul_f64 v[37:38], v[7:8], v[12:13]
	s_waitcnt vmcnt(1)
	v_mul_f64 v[12:13], v[12:13], v[14:15]
	s_waitcnt vmcnt(0)
	v_fma_f64 v[14:15], v[16:17], v[14:15], -v[37:38]
	v_fma_f64 v[7:8], v[7:8], v[16:17], v[12:13]
	global_store_dwordx2 v[9:10], v[14:15], off
	v_add_co_u32_e32 v9, vcc, -8, v9
	v_addc_co_u32_e32 v10, vcc, -1, v10, vcc
	s_cbranch_scc0 .LBB30_84
	s_branch .LBB30_82
.LBB30_85:                              ;   in Loop: Header=BB30_4 Depth=1
	s_or_b64 exec, exec, s[76:77]
.LBB30_86:                              ;   in Loop: Header=BB30_4 Depth=1
	s_mov_b64 s[76:77], 0
.LBB30_87:                              ;   in Loop: Header=BB30_4 Depth=1
	s_andn2_b64 vcc, exec, s[76:77]
	s_cbranch_vccnz .LBB30_94
; %bb.88:                               ;   in Loop: Header=BB30_4 Depth=1
	s_and_saveexec_b64 s[76:77], s[2:3]
	s_cbranch_execz .LBB30_93
; %bb.89:                               ;   in Loop: Header=BB30_4 Depth=1
	v_mov_b32_e32 v4, v2
	s_mov_b64 s[78:79], 0
	v_mov_b32_e32 v3, v1
	v_mov_b32_e32 v11, v0
	s_branch .LBB30_91
.LBB30_90:                              ;   in Loop: Header=BB30_91 Depth=2
	v_add_u32_e32 v11, s58, v11
	v_cmp_le_i32_e32 vcc, s90, v11
	s_waitcnt vmcnt(0)
	global_store_dwordx2 v[5:6], v[7:8], off
	v_mov_b32_e32 v5, s69
	s_or_b64 s[78:79], vcc, s[78:79]
	v_add_co_u32_e32 v3, vcc, s68, v3
	v_addc_co_u32_e32 v4, vcc, v4, v5, vcc
	s_andn2_b64 exec, exec, s[78:79]
	s_cbranch_execz .LBB30_93
.LBB30_91:                              ;   Parent Loop BB30_4 Depth=1
                                        ; =>  This Loop Header: Depth=2
                                        ;       Child Loop BB30_92 Depth 3
	v_mad_i64_i32 v[5:6], s[40:41], v11, s24, 0
	v_mov_b32_e32 v7, s51
	v_mov_b32_e32 v10, v4
	v_lshlrev_b64 v[5:6], 3, v[5:6]
	v_mov_b32_e32 v9, v3
	v_add_co_u32_e32 v5, vcc, s45, v5
	v_addc_co_u32_e32 v6, vcc, v7, v6, vcc
	global_load_dwordx2 v[7:8], v[5:6], off
	s_andn2_b64 vcc, exec, s[56:57]
	s_mov_b32 s18, s50
	s_mov_b64 s[80:81], s[20:21]
	s_mov_b64 s[82:83], s[70:71]
	s_cbranch_vccnz .LBB30_90
.LBB30_92:                              ;   Parent Loop BB30_4 Depth=1
                                        ;     Parent Loop BB30_91 Depth=2
                                        ; =>    This Inner Loop Header: Depth=3
	global_load_dwordx2 v[12:13], v36, s[82:83]
	global_load_dwordx2 v[14:15], v[9:10], off
	global_load_dwordx2 v[16:17], v36, s[80:81]
	s_add_u32 s82, s82, 8
	s_addc_u32 s83, s83, 0
	s_add_u32 s80, s80, 8
	s_addc_u32 s81, s81, 0
	s_add_i32 s18, s18, -1
	s_cmp_eq_u32 s18, 0
	s_waitcnt vmcnt(2)
	v_mul_f64 v[37:38], v[7:8], v[12:13]
	s_waitcnt vmcnt(1)
	v_mul_f64 v[12:13], v[12:13], v[14:15]
	s_waitcnt vmcnt(0)
	v_fma_f64 v[14:15], v[16:17], v[14:15], -v[37:38]
	v_fma_f64 v[7:8], v[7:8], v[16:17], v[12:13]
	global_store_dwordx2 v[9:10], v[14:15], off
	v_add_co_u32_e32 v9, vcc, 8, v9
	v_addc_co_u32_e32 v10, vcc, 0, v10, vcc
	s_cbranch_scc0 .LBB30_92
	s_branch .LBB30_90
.LBB30_93:                              ;   in Loop: Header=BB30_4 Depth=1
	s_or_b64 exec, exec, s[76:77]
.LBB30_94:                              ;   in Loop: Header=BB30_4 Depth=1
	s_mov_b64 s[76:77], 0
.LBB30_95:                              ;   in Loop: Header=BB30_4 Depth=1
	s_andn2_b64 vcc, exec, s[76:77]
	s_cbranch_vccnz .LBB30_102
; %bb.96:                               ;   in Loop: Header=BB30_4 Depth=1
	s_and_saveexec_b64 s[76:77], s[2:3]
	s_cbranch_execz .LBB30_101
; %bb.97:                               ;   in Loop: Header=BB30_4 Depth=1
	s_lshl_b64 s[40:41], s[54:55], 3
	v_mov_b32_e32 v4, s43
	v_add_co_u32_e32 v3, vcc, s42, v34
	s_add_u32 s40, s45, s40
	v_addc_co_u32_e32 v4, vcc, v35, v4, vcc
	s_addc_u32 s41, s51, s41
	s_mov_b64 s[78:79], 0
	v_mov_b32_e32 v11, v0
	s_branch .LBB30_99
.LBB30_98:                              ;   in Loop: Header=BB30_99 Depth=2
	v_mov_b32_e32 v9, s51
	v_add_co_u32_e32 v5, vcc, s45, v5
	v_addc_co_u32_e32 v6, vcc, v9, v6, vcc
	v_add_u32_e32 v11, s58, v11
	v_cmp_le_i32_e32 vcc, s90, v11
	s_waitcnt vmcnt(0)
	global_store_dwordx2 v[5:6], v[7:8], off
	v_mov_b32_e32 v5, s69
	s_or_b64 s[78:79], vcc, s[78:79]
	v_add_co_u32_e32 v3, vcc, s68, v3
	v_addc_co_u32_e32 v4, vcc, v4, v5, vcc
	s_andn2_b64 exec, exec, s[78:79]
	s_cbranch_execz .LBB30_101
.LBB30_99:                              ;   Parent Loop BB30_4 Depth=1
                                        ; =>  This Loop Header: Depth=2
                                        ;       Child Loop BB30_100 Depth 3
	v_mad_i64_i32 v[5:6], s[42:43], v11, s24, 0
	v_mov_b32_e32 v8, s41
	v_mov_b32_e32 v10, v4
	v_lshlrev_b64 v[5:6], 3, v[5:6]
	v_mov_b32_e32 v9, v3
	v_add_co_u32_e32 v7, vcc, s40, v5
	v_addc_co_u32_e32 v8, vcc, v8, v6, vcc
	global_load_dwordx2 v[7:8], v[7:8], off offset:-8
	s_andn2_b64 vcc, exec, s[56:57]
	s_mov_b64 s[80:81], s[74:75]
	s_mov_b64 s[82:83], s[72:73]
	s_mov_b32 s18, s50
	s_cbranch_vccnz .LBB30_98
.LBB30_100:                             ;   Parent Loop BB30_4 Depth=1
                                        ;     Parent Loop BB30_99 Depth=2
                                        ; =>    This Inner Loop Header: Depth=3
	global_load_dwordx2 v[12:13], v[9:10], off offset:-8
	global_load_dwordx2 v[14:15], v36, s[80:81]
	global_load_dwordx2 v[16:17], v36, s[82:83]
	s_add_i32 s18, s18, -1
	s_add_u32 s82, s82, -8
	s_addc_u32 s83, s83, -1
	v_add_co_u32_e32 v39, vcc, -8, v9
	s_add_u32 s80, s80, -8
	v_addc_co_u32_e32 v40, vcc, -1, v10, vcc
	s_addc_u32 s81, s81, -1
	s_cmp_eq_u32 s18, 0
	s_waitcnt vmcnt(1)
	v_mul_f64 v[37:38], v[14:15], v[12:13]
	s_waitcnt vmcnt(0)
	v_mul_f64 v[12:13], v[16:17], v[12:13]
	v_fma_f64 v[16:17], v[7:8], v[16:17], -v[37:38]
	v_fma_f64 v[7:8], v[7:8], v[14:15], v[12:13]
	global_store_dwordx2 v[9:10], v[16:17], off
	v_mov_b32_e32 v9, v39
	v_mov_b32_e32 v10, v40
	s_cbranch_scc0 .LBB30_100
	s_branch .LBB30_98
.LBB30_101:                             ;   in Loop: Header=BB30_4 Depth=1
	s_or_b64 exec, exec, s[76:77]
.LBB30_102:                             ;   in Loop: Header=BB30_4 Depth=1
	s_cbranch_execnz .LBB30_3
.LBB30_103:                             ;   in Loop: Header=BB30_4 Depth=1
	s_and_saveexec_b64 s[72:73], s[2:3]
	s_cbranch_execz .LBB30_2
; %bb.104:                              ;   in Loop: Header=BB30_4 Depth=1
	s_lshl_b64 s[40:41], s[54:55], 3
	s_add_u32 s40, s45, s40
	s_addc_u32 s41, s51, s41
	s_mov_b64 s[74:75], 0
	v_mov_b32_e32 v9, v0
	s_branch .LBB30_106
.LBB30_105:                             ;   in Loop: Header=BB30_106 Depth=2
	v_mov_b32_e32 v7, s41
	v_add_co_u32_e32 v3, vcc, s40, v3
	v_addc_co_u32_e32 v4, vcc, v7, v4, vcc
	v_add_u32_e32 v9, s58, v9
	v_cmp_le_i32_e32 vcc, s90, v9
	s_waitcnt vmcnt(0)
	global_store_dwordx2 v[3:4], v[5:6], off offset:-8
	v_mov_b32_e32 v3, s69
	s_or_b64 s[74:75], vcc, s[74:75]
	v_add_co_u32_e32 v1, vcc, s68, v1
	v_addc_co_u32_e32 v2, vcc, v2, v3, vcc
	s_andn2_b64 exec, exec, s[74:75]
	s_cbranch_execz .LBB30_2
.LBB30_106:                             ;   Parent Loop BB30_4 Depth=1
                                        ; =>  This Loop Header: Depth=2
                                        ;       Child Loop BB30_107 Depth 3
	v_mad_i64_i32 v[3:4], s[42:43], v9, s24, 0
	v_mov_b32_e32 v6, s51
	v_mov_b32_e32 v8, v2
	v_lshlrev_b64 v[3:4], 3, v[3:4]
	s_mov_b64 s[76:77], s[70:71]
	v_add_co_u32_e32 v5, vcc, s45, v3
	v_addc_co_u32_e32 v6, vcc, v6, v4, vcc
	global_load_dwordx2 v[5:6], v[5:6], off
	s_andn2_b64 vcc, exec, s[56:57]
	s_mov_b64 s[78:79], s[20:21]
	v_mov_b32_e32 v7, v1
	s_mov_b32 s18, s50
	s_cbranch_vccnz .LBB30_105
.LBB30_107:                             ;   Parent Loop BB30_4 Depth=1
                                        ;     Parent Loop BB30_106 Depth=2
                                        ; =>    This Inner Loop Header: Depth=3
	global_load_dwordx2 v[10:11], v[7:8], off
	global_load_dwordx2 v[12:13], v36, s[76:77]
	global_load_dwordx2 v[14:15], v36, s[78:79]
	s_add_i32 s18, s18, -1
	s_add_u32 s78, s78, 8
	s_addc_u32 s79, s79, 0
	s_add_u32 s76, s76, 8
	s_addc_u32 s77, s77, 0
	s_cmp_eq_u32 s18, 0
	s_waitcnt vmcnt(1)
	v_mul_f64 v[16:17], v[12:13], v[10:11]
	v_mul_f64 v[12:13], v[5:6], v[12:13]
	s_waitcnt vmcnt(0)
	v_fma_f64 v[16:17], v[5:6], v[14:15], v[16:17]
	v_fma_f64 v[5:6], v[14:15], v[10:11], -v[12:13]
	global_store_dwordx2 v[7:8], v[16:17], off offset:-8
	v_add_co_u32_e32 v7, vcc, 8, v7
	v_addc_co_u32_e32 v8, vcc, 0, v8, vcc
	s_cbranch_scc0 .LBB30_107
	s_branch .LBB30_105
.LBB30_108:
	s_endpgm
	.section	.rodata,"a",@progbits
	.p2align	6, 0x0
	.amdhsa_kernel _ZN9rocsolver6v33100L11lasr_kernelIddPdiEEv13rocblas_side_14rocblas_pivot_15rocblas_direct_T2_S6_PT0_lS8_lT1_lS6_lS6_
		.amdhsa_group_segment_fixed_size 0
		.amdhsa_private_segment_fixed_size 0
		.amdhsa_kernarg_size 352
		.amdhsa_user_sgpr_count 6
		.amdhsa_user_sgpr_private_segment_buffer 1
		.amdhsa_user_sgpr_dispatch_ptr 0
		.amdhsa_user_sgpr_queue_ptr 0
		.amdhsa_user_sgpr_kernarg_segment_ptr 1
		.amdhsa_user_sgpr_dispatch_id 0
		.amdhsa_user_sgpr_flat_scratch_init 0
		.amdhsa_user_sgpr_private_segment_size 0
		.amdhsa_uses_dynamic_stack 0
		.amdhsa_system_sgpr_private_segment_wavefront_offset 0
		.amdhsa_system_sgpr_workgroup_id_x 1
		.amdhsa_system_sgpr_workgroup_id_y 0
		.amdhsa_system_sgpr_workgroup_id_z 1
		.amdhsa_system_sgpr_workgroup_info 0
		.amdhsa_system_vgpr_workitem_id 0
		.amdhsa_next_free_vgpr 46
		.amdhsa_next_free_sgpr 96
		.amdhsa_reserve_vcc 1
		.amdhsa_reserve_flat_scratch 0
		.amdhsa_float_round_mode_32 0
		.amdhsa_float_round_mode_16_64 0
		.amdhsa_float_denorm_mode_32 3
		.amdhsa_float_denorm_mode_16_64 3
		.amdhsa_dx10_clamp 1
		.amdhsa_ieee_mode 1
		.amdhsa_fp16_overflow 0
		.amdhsa_exception_fp_ieee_invalid_op 0
		.amdhsa_exception_fp_denorm_src 0
		.amdhsa_exception_fp_ieee_div_zero 0
		.amdhsa_exception_fp_ieee_overflow 0
		.amdhsa_exception_fp_ieee_underflow 0
		.amdhsa_exception_fp_ieee_inexact 0
		.amdhsa_exception_int_div_zero 0
	.end_amdhsa_kernel
	.section	.text._ZN9rocsolver6v33100L11lasr_kernelIddPdiEEv13rocblas_side_14rocblas_pivot_15rocblas_direct_T2_S6_PT0_lS8_lT1_lS6_lS6_,"axG",@progbits,_ZN9rocsolver6v33100L11lasr_kernelIddPdiEEv13rocblas_side_14rocblas_pivot_15rocblas_direct_T2_S6_PT0_lS8_lT1_lS6_lS6_,comdat
.Lfunc_end30:
	.size	_ZN9rocsolver6v33100L11lasr_kernelIddPdiEEv13rocblas_side_14rocblas_pivot_15rocblas_direct_T2_S6_PT0_lS8_lT1_lS6_lS6_, .Lfunc_end30-_ZN9rocsolver6v33100L11lasr_kernelIddPdiEEv13rocblas_side_14rocblas_pivot_15rocblas_direct_T2_S6_PT0_lS8_lT1_lS6_lS6_
                                        ; -- End function
	.set _ZN9rocsolver6v33100L11lasr_kernelIddPdiEEv13rocblas_side_14rocblas_pivot_15rocblas_direct_T2_S6_PT0_lS8_lT1_lS6_lS6_.num_vgpr, 46
	.set _ZN9rocsolver6v33100L11lasr_kernelIddPdiEEv13rocblas_side_14rocblas_pivot_15rocblas_direct_T2_S6_PT0_lS8_lT1_lS6_lS6_.num_agpr, 0
	.set _ZN9rocsolver6v33100L11lasr_kernelIddPdiEEv13rocblas_side_14rocblas_pivot_15rocblas_direct_T2_S6_PT0_lS8_lT1_lS6_lS6_.numbered_sgpr, 96
	.set _ZN9rocsolver6v33100L11lasr_kernelIddPdiEEv13rocblas_side_14rocblas_pivot_15rocblas_direct_T2_S6_PT0_lS8_lT1_lS6_lS6_.num_named_barrier, 0
	.set _ZN9rocsolver6v33100L11lasr_kernelIddPdiEEv13rocblas_side_14rocblas_pivot_15rocblas_direct_T2_S6_PT0_lS8_lT1_lS6_lS6_.private_seg_size, 0
	.set _ZN9rocsolver6v33100L11lasr_kernelIddPdiEEv13rocblas_side_14rocblas_pivot_15rocblas_direct_T2_S6_PT0_lS8_lT1_lS6_lS6_.uses_vcc, 1
	.set _ZN9rocsolver6v33100L11lasr_kernelIddPdiEEv13rocblas_side_14rocblas_pivot_15rocblas_direct_T2_S6_PT0_lS8_lT1_lS6_lS6_.uses_flat_scratch, 0
	.set _ZN9rocsolver6v33100L11lasr_kernelIddPdiEEv13rocblas_side_14rocblas_pivot_15rocblas_direct_T2_S6_PT0_lS8_lT1_lS6_lS6_.has_dyn_sized_stack, 0
	.set _ZN9rocsolver6v33100L11lasr_kernelIddPdiEEv13rocblas_side_14rocblas_pivot_15rocblas_direct_T2_S6_PT0_lS8_lT1_lS6_lS6_.has_recursion, 0
	.set _ZN9rocsolver6v33100L11lasr_kernelIddPdiEEv13rocblas_side_14rocblas_pivot_15rocblas_direct_T2_S6_PT0_lS8_lT1_lS6_lS6_.has_indirect_call, 0
	.section	.AMDGPU.csdata,"",@progbits
; Kernel info:
; codeLenInByte = 4560
; TotalNumSgprs: 100
; NumVgprs: 46
; ScratchSize: 0
; MemoryBound: 0
; FloatMode: 240
; IeeeMode: 1
; LDSByteSize: 0 bytes/workgroup (compile time only)
; SGPRBlocks: 12
; VGPRBlocks: 11
; NumSGPRsForWavesPerEU: 100
; NumVGPRsForWavesPerEU: 46
; Occupancy: 5
; WaveLimiterHint : 0
; COMPUTE_PGM_RSRC2:SCRATCH_EN: 0
; COMPUTE_PGM_RSRC2:USER_SGPR: 6
; COMPUTE_PGM_RSRC2:TRAP_HANDLER: 0
; COMPUTE_PGM_RSRC2:TGID_X_EN: 1
; COMPUTE_PGM_RSRC2:TGID_Y_EN: 0
; COMPUTE_PGM_RSRC2:TGID_Z_EN: 1
; COMPUTE_PGM_RSRC2:TIDIG_COMP_CNT: 0
	.section	.text._ZN9rocsolver6v33100L11swap_kernelIdiEEvT0_PT_S2_S4_S2_,"axG",@progbits,_ZN9rocsolver6v33100L11swap_kernelIdiEEvT0_PT_S2_S4_S2_,comdat
	.globl	_ZN9rocsolver6v33100L11swap_kernelIdiEEvT0_PT_S2_S4_S2_ ; -- Begin function _ZN9rocsolver6v33100L11swap_kernelIdiEEvT0_PT_S2_S4_S2_
	.p2align	8
	.type	_ZN9rocsolver6v33100L11swap_kernelIdiEEvT0_PT_S2_S4_S2_,@function
_ZN9rocsolver6v33100L11swap_kernelIdiEEvT0_PT_S2_S4_S2_: ; @_ZN9rocsolver6v33100L11swap_kernelIdiEEvT0_PT_S2_S4_S2_
; %bb.0:
	s_load_dword s16, s[4:5], 0x0
	s_waitcnt lgkmcnt(0)
	s_cmp_lt_i32 s16, 1
	s_cbranch_scc1 .LBB31_10
; %bb.1:
	s_load_dword s0, s[4:5], 0x28
	s_load_dword s1, s[4:5], 0x34
	s_load_dwordx2 s[2:3], s[4:5], 0x8
	s_load_dword s12, s[4:5], 0x10
	s_load_dwordx2 s[8:9], s[4:5], 0x18
	s_load_dword s10, s[4:5], 0x20
	s_waitcnt lgkmcnt(0)
	s_and_b32 s1, s1, 0xffff
	s_mul_i32 s6, s6, s1
	s_cmp_eq_u32 s12, 1
	s_mul_i32 s4, s0, s1
	s_cselect_b64 s[0:1], -1, 0
	s_cmp_eq_u32 s10, 1
	v_add_u32_e32 v0, s6, v0
	s_cselect_b64 s[6:7], -1, 0
	s_and_b64 s[14:15], s[0:1], s[6:7]
	v_cmp_gt_i32_e64 s[0:1], s16, v0
	s_mov_b64 s[6:7], -1
	s_and_b64 vcc, exec, s[14:15]
	s_cbranch_vccnz .LBB31_6
; %bb.2:
	s_and_saveexec_b64 s[6:7], s[0:1]
	s_cbranch_execz .LBB31_5
; %bb.3:
	v_mad_i64_i32 v[1:2], s[14:15], s10, v0, 0
	v_mov_b32_e32 v3, s9
	s_mul_hi_i32 s11, s10, s4
	v_lshlrev_b64 v[1:2], 3, v[1:2]
	s_mul_i32 s10, s10, s4
	v_add_co_u32_e32 v1, vcc, s8, v1
	v_addc_co_u32_e32 v2, vcc, v3, v2, vcc
	v_mad_i64_i32 v[3:4], s[14:15], s12, v0, 0
	s_mul_hi_i32 s13, s12, s4
	s_mul_i32 s12, s12, s4
	v_lshlrev_b64 v[3:4], 3, v[3:4]
	s_lshl_b64 s[10:11], s[10:11], 3
	v_mov_b32_e32 v5, s3
	v_add_co_u32_e32 v3, vcc, s2, v3
	s_lshl_b64 s[12:13], s[12:13], 3
	v_addc_co_u32_e32 v4, vcc, v5, v4, vcc
	s_mov_b64 s[14:15], 0
	v_mov_b32_e32 v5, s11
	v_mov_b32_e32 v6, s13
	;; [unrolled: 1-line block ×3, first 2 shown]
.LBB31_4:                               ; =>This Inner Loop Header: Depth=1
	global_load_dwordx2 v[8:9], v[3:4], off
	global_load_dwordx2 v[10:11], v[1:2], off
	v_add_u32_e32 v7, s4, v7
	v_cmp_le_i32_e32 vcc, s16, v7
	s_or_b64 s[14:15], vcc, s[14:15]
	s_waitcnt vmcnt(1)
	global_store_dwordx2 v[1:2], v[8:9], off
	s_waitcnt vmcnt(1)
	global_store_dwordx2 v[3:4], v[10:11], off
	v_add_co_u32_e32 v1, vcc, s10, v1
	v_addc_co_u32_e32 v2, vcc, v2, v5, vcc
	v_add_co_u32_e32 v3, vcc, s12, v3
	v_addc_co_u32_e32 v4, vcc, v4, v6, vcc
	s_andn2_b64 exec, exec, s[14:15]
	s_cbranch_execnz .LBB31_4
.LBB31_5:
	s_or_b64 exec, exec, s[6:7]
	s_mov_b64 s[6:7], 0
.LBB31_6:
	s_andn2_b64 vcc, exec, s[6:7]
	s_cbranch_vccnz .LBB31_10
; %bb.7:
	s_and_saveexec_b64 s[6:7], s[0:1]
	s_cbranch_execz .LBB31_10
; %bb.8:
	v_ashrrev_i32_e32 v1, 31, v0
	s_ashr_i32 s5, s4, 31
	v_lshlrev_b64 v[1:2], 3, v[0:1]
	s_lshl_b64 s[0:1], s[4:5], 3
	s_mov_b64 s[6:7], 0
	v_mov_b32_e32 v3, s9
	v_mov_b32_e32 v4, s3
	;; [unrolled: 1-line block ×3, first 2 shown]
.LBB31_9:                               ; =>This Inner Loop Header: Depth=1
	v_add_co_u32_e32 v6, vcc, s8, v1
	v_addc_co_u32_e32 v7, vcc, v3, v2, vcc
	v_add_co_u32_e32 v8, vcc, s2, v1
	v_addc_co_u32_e32 v9, vcc, v4, v2, vcc
	global_load_dwordx2 v[10:11], v[8:9], off
	global_load_dwordx2 v[12:13], v[6:7], off
	v_add_co_u32_e32 v1, vcc, s0, v1
	v_add_u32_e32 v0, s4, v0
	v_addc_co_u32_e32 v2, vcc, v2, v5, vcc
	v_cmp_le_i32_e32 vcc, s16, v0
	s_or_b64 s[6:7], vcc, s[6:7]
	s_waitcnt vmcnt(1)
	global_store_dwordx2 v[6:7], v[10:11], off
	s_waitcnt vmcnt(1)
	global_store_dwordx2 v[8:9], v[12:13], off
	s_andn2_b64 exec, exec, s[6:7]
	s_cbranch_execnz .LBB31_9
.LBB31_10:
	s_endpgm
	.section	.rodata,"a",@progbits
	.p2align	6, 0x0
	.amdhsa_kernel _ZN9rocsolver6v33100L11swap_kernelIdiEEvT0_PT_S2_S4_S2_
		.amdhsa_group_segment_fixed_size 0
		.amdhsa_private_segment_fixed_size 0
		.amdhsa_kernarg_size 296
		.amdhsa_user_sgpr_count 6
		.amdhsa_user_sgpr_private_segment_buffer 1
		.amdhsa_user_sgpr_dispatch_ptr 0
		.amdhsa_user_sgpr_queue_ptr 0
		.amdhsa_user_sgpr_kernarg_segment_ptr 1
		.amdhsa_user_sgpr_dispatch_id 0
		.amdhsa_user_sgpr_flat_scratch_init 0
		.amdhsa_user_sgpr_private_segment_size 0
		.amdhsa_uses_dynamic_stack 0
		.amdhsa_system_sgpr_private_segment_wavefront_offset 0
		.amdhsa_system_sgpr_workgroup_id_x 1
		.amdhsa_system_sgpr_workgroup_id_y 0
		.amdhsa_system_sgpr_workgroup_id_z 0
		.amdhsa_system_sgpr_workgroup_info 0
		.amdhsa_system_vgpr_workitem_id 0
		.amdhsa_next_free_vgpr 14
		.amdhsa_next_free_sgpr 17
		.amdhsa_reserve_vcc 1
		.amdhsa_reserve_flat_scratch 0
		.amdhsa_float_round_mode_32 0
		.amdhsa_float_round_mode_16_64 0
		.amdhsa_float_denorm_mode_32 3
		.amdhsa_float_denorm_mode_16_64 3
		.amdhsa_dx10_clamp 1
		.amdhsa_ieee_mode 1
		.amdhsa_fp16_overflow 0
		.amdhsa_exception_fp_ieee_invalid_op 0
		.amdhsa_exception_fp_denorm_src 0
		.amdhsa_exception_fp_ieee_div_zero 0
		.amdhsa_exception_fp_ieee_overflow 0
		.amdhsa_exception_fp_ieee_underflow 0
		.amdhsa_exception_fp_ieee_inexact 0
		.amdhsa_exception_int_div_zero 0
	.end_amdhsa_kernel
	.section	.text._ZN9rocsolver6v33100L11swap_kernelIdiEEvT0_PT_S2_S4_S2_,"axG",@progbits,_ZN9rocsolver6v33100L11swap_kernelIdiEEvT0_PT_S2_S4_S2_,comdat
.Lfunc_end31:
	.size	_ZN9rocsolver6v33100L11swap_kernelIdiEEvT0_PT_S2_S4_S2_, .Lfunc_end31-_ZN9rocsolver6v33100L11swap_kernelIdiEEvT0_PT_S2_S4_S2_
                                        ; -- End function
	.set _ZN9rocsolver6v33100L11swap_kernelIdiEEvT0_PT_S2_S4_S2_.num_vgpr, 14
	.set _ZN9rocsolver6v33100L11swap_kernelIdiEEvT0_PT_S2_S4_S2_.num_agpr, 0
	.set _ZN9rocsolver6v33100L11swap_kernelIdiEEvT0_PT_S2_S4_S2_.numbered_sgpr, 17
	.set _ZN9rocsolver6v33100L11swap_kernelIdiEEvT0_PT_S2_S4_S2_.num_named_barrier, 0
	.set _ZN9rocsolver6v33100L11swap_kernelIdiEEvT0_PT_S2_S4_S2_.private_seg_size, 0
	.set _ZN9rocsolver6v33100L11swap_kernelIdiEEvT0_PT_S2_S4_S2_.uses_vcc, 1
	.set _ZN9rocsolver6v33100L11swap_kernelIdiEEvT0_PT_S2_S4_S2_.uses_flat_scratch, 0
	.set _ZN9rocsolver6v33100L11swap_kernelIdiEEvT0_PT_S2_S4_S2_.has_dyn_sized_stack, 0
	.set _ZN9rocsolver6v33100L11swap_kernelIdiEEvT0_PT_S2_S4_S2_.has_recursion, 0
	.set _ZN9rocsolver6v33100L11swap_kernelIdiEEvT0_PT_S2_S4_S2_.has_indirect_call, 0
	.section	.AMDGPU.csdata,"",@progbits
; Kernel info:
; codeLenInByte = 460
; TotalNumSgprs: 21
; NumVgprs: 14
; ScratchSize: 0
; MemoryBound: 0
; FloatMode: 240
; IeeeMode: 1
; LDSByteSize: 0 bytes/workgroup (compile time only)
; SGPRBlocks: 2
; VGPRBlocks: 3
; NumSGPRsForWavesPerEU: 21
; NumVGPRsForWavesPerEU: 14
; Occupancy: 10
; WaveLimiterHint : 0
; COMPUTE_PGM_RSRC2:SCRATCH_EN: 0
; COMPUTE_PGM_RSRC2:USER_SGPR: 6
; COMPUTE_PGM_RSRC2:TRAP_HANDLER: 0
; COMPUTE_PGM_RSRC2:TGID_X_EN: 1
; COMPUTE_PGM_RSRC2:TGID_Y_EN: 0
; COMPUTE_PGM_RSRC2:TGID_Z_EN: 0
; COMPUTE_PGM_RSRC2:TIDIG_COMP_CNT: 0
	.text
	.p2align	2                               ; -- Begin function _ZN9rocsolver6v331009run_steqrIddEEviiiPT0_S3_PT_iPiS3_iS2_S2_S2_b
	.type	_ZN9rocsolver6v331009run_steqrIddEEviiiPT0_S3_PT_iPiS3_iS2_S2_S2_b,@function
_ZN9rocsolver6v331009run_steqrIddEEviiiPT0_S3_PT_iPiS3_iS2_S2_S2_b: ; @_ZN9rocsolver6v331009run_steqrIddEEviiiPT0_S3_PT_iPiS3_iS2_S2_S2_b
; %bb.0:
	s_waitcnt vmcnt(0) expcnt(0) lgkmcnt(0)
	v_mov_b32_e32 v24, v1
	v_and_b32_e32 v1, 1, v21
	v_mov_b32_e32 v23, v3
	s_mov_b32 s10, s15
	v_cmp_eq_u32_e64 s[6:7], 1, v1
	v_cmp_eq_u32_e64 s[8:9], 0, v0
	v_mov_b32_e32 v1, v0
	v_cmp_ne_u32_e64 s[4:5], 0, v0
	s_mul_hi_i32 s14, s15, 36
	s_mul_i32 s15, s15, 36
	buffer_store_dword v40, off, s[0:3], s32 offset:60 ; 4-byte Folded Spill
	buffer_store_dword v41, off, s[0:3], s32 offset:56 ; 4-byte Folded Spill
	buffer_store_dword v42, off, s[0:3], s32 offset:52 ; 4-byte Folded Spill
	buffer_store_dword v43, off, s[0:3], s32 offset:48 ; 4-byte Folded Spill
	buffer_store_dword v44, off, s[0:3], s32 offset:44 ; 4-byte Folded Spill
	buffer_store_dword v45, off, s[0:3], s32 offset:40 ; 4-byte Folded Spill
	buffer_store_dword v46, off, s[0:3], s32 offset:36 ; 4-byte Folded Spill
	buffer_store_dword v47, off, s[0:3], s32 offset:32 ; 4-byte Folded Spill
	buffer_store_dword v56, off, s[0:3], s32 offset:28 ; 4-byte Folded Spill
	buffer_store_dword v57, off, s[0:3], s32 offset:24 ; 4-byte Folded Spill
	buffer_store_dword v58, off, s[0:3], s32 offset:20 ; 4-byte Folded Spill
	buffer_store_dword v59, off, s[0:3], s32 offset:16 ; 4-byte Folded Spill
	buffer_store_dword v60, off, s[0:3], s32 offset:12 ; 4-byte Folded Spill
	buffer_store_dword v61, off, s[0:3], s32 offset:8 ; 4-byte Folded Spill
	buffer_store_dword v62, off, s[0:3], s32 offset:4 ; 4-byte Folded Spill
	buffer_store_dword v63, off, s[0:3], s32 ; 4-byte Folded Spill
	buffer_store_dword v14, off, s[0:3], s32 offset:100 ; 4-byte Folded Spill
	buffer_store_dword v13, off, s[0:3], s32 offset:136 ; 4-byte Folded Spill
	;; [unrolled: 1-line block ×6, first 2 shown]
	s_nop 0
	buffer_store_dword v20, off, s[0:3], s32 offset:180 ; 4-byte Folded Spill
	buffer_store_dword v17, off, s[0:3], s32 offset:188 ; 4-byte Folded Spill
	s_nop 0
	buffer_store_dword v18, off, s[0:3], s32 offset:192 ; 4-byte Folded Spill
	buffer_store_dword v15, off, s[0:3], s32 offset:112 ; 4-byte Folded Spill
	;; [unrolled: 3-line block ×3, first 2 shown]
	s_nop 0
	buffer_store_dword v2, off, s[0:3], s32 offset:132 ; 4-byte Folded Spill
                                        ; implicit-def: $sgpr17
                                        ; implicit-def: $sgpr16
	s_and_saveexec_b64 s[12:13], s[4:5]
	s_xor_b64 s[12:13], exec, s[12:13]
	s_cbranch_execz .LBB32_2
; %bb.1:
	s_ashr_i32 s11, s10, 31
	s_getpc_b64 s[16:17]
	s_add_u32 s16, s16, llvm.amdgcn.lds.offset.table@rel32@lo+16
	s_addc_u32 s17, s17, llvm.amdgcn.lds.offset.table@rel32@hi+24
	s_add_u32 s18, s16, s15
	s_addc_u32 s19, s17, s14
	s_getpc_b64 s[16:17]
	s_add_u32 s16, s16, llvm.amdgcn.lds.offset.table@rel32@lo+32
	s_addc_u32 s17, s17, llvm.amdgcn.lds.offset.table@rel32@hi+40
	s_add_u32 s20, s16, s15
	s_addc_u32 s21, s17, s14
	s_load_dword s16, s[18:19], 0x0
	s_load_dword s17, s[20:21], 0x0
.LBB32_2:
	s_or_saveexec_b64 s[12:13], s[12:13]
	v_mov_b32_e32 v7, s10
	s_waitcnt lgkmcnt(0)
	v_mov_b32_e32 v3, s17
	v_mov_b32_e32 v12, s16
	;; [unrolled: 1-line block ×3, first 2 shown]
	buffer_store_dword v10, off, s[0:3], s32 offset:232 ; 4-byte Folded Spill
	s_nop 0
	buffer_store_dword v11, off, s[0:3], s32 offset:236 ; 4-byte Folded Spill
	s_xor_b64 exec, exec, s[12:13]
	s_cbranch_execz .LBB32_4
; %bb.3:
	s_ashr_i32 s11, s10, 31
	s_getpc_b64 s[16:17]
	s_add_u32 s16, s16, llvm.amdgcn.lds.offset.table@rel32@lo+16
	s_addc_u32 s17, s17, llvm.amdgcn.lds.offset.table@rel32@hi+24
	s_add_u32 s16, s16, s15
	s_addc_u32 s17, s17, s14
	s_load_dword s18, s[16:17], 0x0
	s_getpc_b64 s[16:17]
	s_add_u32 s16, s16, llvm.amdgcn.lds.offset.table@rel32@lo+32
	s_addc_u32 s17, s17, llvm.amdgcn.lds.offset.table@rel32@hi+40
	s_add_u32 s16, s16, s15
	s_addc_u32 s17, s17, s14
	s_load_dword s14, s[16:17], 0x0
	v_mov_b32_e32 v0, 0
	s_waitcnt lgkmcnt(0)
	v_mov_b32_e32 v1, s18
	v_mov_b32_e32 v7, s10
	ds_write_b32 v1, v0
	v_mov_b32_e32 v1, s14
	v_mov_b32_e32 v3, s14
	;; [unrolled: 1-line block ×4, first 2 shown]
	ds_write_b32 v1, v0
.LBB32_4:
	s_or_b64 exec, exec, s[12:13]
	s_getpc_b64 s[10:11]
	s_add_u32 s10, s10, llvm.amdgcn.lds.offset.table@rel32@lo+4
	s_addc_u32 s11, s11, llvm.amdgcn.lds.offset.table@rel32@hi+12
	v_mad_u64_u32 v[10:11], s[10:11], v7, 36, s[10:11]
	s_waitcnt vmcnt(0) lgkmcnt(0)
	s_barrier
	v_mov_b32_e32 v0, v11
	v_mad_u64_u32 v[0:1], s[10:11], v8, 36, v[0:1]
	buffer_store_dword v12, off, s[0:3], s32 offset:184 ; 4-byte Folded Spill
	v_mov_b32_e32 v11, v0
	ds_read_b32 v26, v12
	buffer_store_dword v3, off, s[0:3], s32 offset:212 ; 4-byte Folded Spill
	ds_read_b32 v1, v3
	buffer_store_dword v10, off, s[0:3], s32 offset:64 ; 4-byte Folded Spill
	s_nop 0
	buffer_store_dword v11, off, s[0:3], s32 offset:68 ; 4-byte Folded Spill
	buffer_load_dword v0, off, s[0:3], s32 offset:100 ; 4-byte Folded Reload
	s_waitcnt lgkmcnt(1)
	v_cmp_lt_i32_e32 vcc, v26, v2
	v_ashrrev_i32_e32 v25, 31, v24
	s_waitcnt vmcnt(0) lgkmcnt(0)
	v_cmp_lt_i32_e64 s[10:11], v1, v0
	v_add_u32_e32 v0, -1, v2
	buffer_store_dword v0, off, s[0:3], s32 offset:120 ; 4-byte Folded Spill
	s_nop 0
	buffer_store_dword v1, off, s[0:3], s32 offset:124 ; 4-byte Folded Spill
	buffer_load_dword v0, off, s[0:3], s32 offset:128 ; 4-byte Folded Reload
	s_nop 0
	buffer_load_dword v1, off, s[0:3], s32 offset:132 ; 4-byte Folded Reload
	s_and_b64 s[10:11], vcc, s[10:11]
	s_waitcnt vmcnt(0)
	v_ashrrev_i32_e32 v1, 31, v0
	buffer_store_dword v0, off, s[0:3], s32 offset:128 ; 4-byte Folded Spill
	s_nop 0
	buffer_store_dword v1, off, s[0:3], s32 offset:132 ; 4-byte Folded Spill
	s_and_saveexec_b64 s[16:17], s[10:11]
	s_cbranch_execz .LBB32_234
; %bb.5:
	buffer_load_dword v0, off, s[0:3], s32 offset:112 ; 4-byte Folded Reload
	buffer_load_dword v1, off, s[0:3], s32 offset:116 ; 4-byte Folded Reload
	v_add_co_u32_e32 v11, vcc, -8, v23
	v_ashrrev_i32_e32 v10, 31, v9
	v_lshlrev_b64 v[48:49], 3, v[9:10]
	v_ashrrev_i32_e32 v3, 31, v2
	v_lshlrev_b64 v[36:37], 3, v[24:25]
	s_mov_b32 s20, 0
	s_mov_b32 s22, 0x667f3bcd
	s_mov_b64 s[18:19], 0
	s_brev_b32 s21, 8
	s_mov_b32 s23, 0x3ff6a09e
                                        ; implicit-def: $vgpr44_vgpr45
                                        ; implicit-def: $vgpr46_vgpr47
                                        ; implicit-def: $vgpr16
                                        ; implicit-def: $vgpr56_vgpr57
	s_waitcnt vmcnt(0)
	v_mul_f64 v[34:35], v[0:1], v[0:1]
	buffer_load_dword v0, off, s[0:3], s32 offset:128 ; 4-byte Folded Reload
	buffer_load_dword v1, off, s[0:3], s32 offset:132 ; 4-byte Folded Reload
	;; [unrolled: 1-line block ×4, first 2 shown]
	s_waitcnt vmcnt(3)
	v_cmp_lt_i32_e64 s[10:11], v0, v2
	s_waitcnt vmcnt(0)
	v_ashrrev_i32_e32 v8, 31, v7
	buffer_store_dword v11, off, s[0:3], s32 offset:196 ; 4-byte Folded Spill
	v_addc_co_u32_e32 v11, vcc, -1, v4, vcc
	buffer_store_dword v11, off, s[0:3], s32 offset:200 ; 4-byte Folded Spill
	buffer_store_dword v7, off, s[0:3], s32 offset:120 ; 4-byte Folded Spill
	s_nop 0
	buffer_store_dword v8, off, s[0:3], s32 offset:124 ; 4-byte Folded Spill
	v_lshlrev_b64 v[0:1], 3, v[0:1]
	v_lshlrev_b64 v[7:8], 3, v[7:8]
	buffer_store_dword v7, off, s[0:3], s32 offset:104 ; 4-byte Folded Spill
	s_nop 0
	buffer_store_dword v8, off, s[0:3], s32 offset:108 ; 4-byte Folded Spill
	buffer_load_dword v7, off, s[0:3], s32 offset:164 ; 4-byte Folded Reload
	s_waitcnt vmcnt(0)
	v_add_co_u32_e32 v0, vcc, v7, v0
	buffer_store_dword v0, off, s[0:3], s32 offset:168 ; 4-byte Folded Spill
	buffer_load_dword v0, off, s[0:3], s32 offset:160 ; 4-byte Folded Reload
                                        ; implicit-def: $vgpr7_vgpr8
                                        ; kill: killed $vgpr7_vgpr8
                                        ; implicit-def: $vgpr7_vgpr8
                                        ; kill: killed $vgpr7_vgpr8
	s_waitcnt vmcnt(0)
	v_addc_co_u32_e32 v0, vcc, v0, v1, vcc
	buffer_store_dword v0, off, s[0:3], s32 offset:172 ; 4-byte Folded Spill
	v_sub_co_u32_e32 v53, vcc, 0, v48
	v_lshlrev_b64 v[0:1], 3, v[2:3]
	v_subb_co_u32_e32 v63, vcc, 0, v49, vcc
	v_add_co_u32_e32 v3, vcc, -8, v0
	v_addc_co_u32_e32 v15, vcc, -1, v1, vcc
	v_add_co_u32_e32 v0, vcc, -8, v5
	buffer_store_dword v0, off, s[0:3], s32 offset:204 ; 4-byte Folded Spill
	v_addc_co_u32_e32 v0, vcc, -1, v6, vcc
	buffer_store_dword v0, off, s[0:3], s32 offset:208 ; 4-byte Folded Spill
	v_mov_b32_e32 v0, 0
	buffer_store_dword v0, off, s[0:3], s32 offset:92 ; 4-byte Folded Spill
	s_nop 0
	buffer_store_dword v1, off, s[0:3], s32 offset:96 ; 4-byte Folded Spill
                                        ; implicit-def: $vgpr0_vgpr1
                                        ; kill: killed $vgpr0_vgpr1
                                        ; implicit-def: $vgpr0_vgpr1
                                        ; kill: killed $vgpr0_vgpr1
                                        ; implicit-def: $vgpr0
	buffer_load_dword v1, off, s[0:3], s32 offset:212 ; 4-byte Folded Reload
	s_waitcnt vmcnt(0)
	buffer_store_dword v1, off, s[0:3], s32 offset:88 ; 4-byte Folded Spill
	s_branch .LBB32_8
.LBB32_6:                               ;   in Loop: Header=BB32_8 Depth=1
	s_or_b64 exec, exec, s[12:13]
	s_waitcnt vmcnt(0) lgkmcnt(0)
	s_barrier
	buffer_load_dword v12, off, s[0:3], s32 offset:88 ; 4-byte Folded Reload
	s_waitcnt vmcnt(0)
	v_mov_b32_e32 v11, v12
.LBB32_7:                               ;   in Loop: Header=BB32_8 Depth=1
	s_or_b64 exec, exec, s[24:25]
	buffer_load_dword v1, off, s[0:3], s32 offset:184 ; 4-byte Folded Reload
	s_waitcnt vmcnt(0)
	ds_read_b32 v26, v1
	ds_read_b32 v1, v12
	buffer_load_dword v7, off, s[0:3], s32 offset:100 ; 4-byte Folded Reload
	s_waitcnt lgkmcnt(1)
	v_cmp_ge_i32_e32 vcc, v26, v2
	buffer_store_dword v11, off, s[0:3], s32 offset:88 ; 4-byte Folded Spill
	s_waitcnt vmcnt(1) lgkmcnt(0)
	v_cmp_ge_i32_e64 s[12:13], v1, v7
	s_or_b64 s[12:13], vcc, s[12:13]
	s_and_b64 s[12:13], exec, s[12:13]
	s_or_b64 s[18:19], s[12:13], s[18:19]
	s_andn2_b64 exec, exec, s[18:19]
	s_cbranch_execz .LBB32_234
.LBB32_8:                               ; =>This Loop Header: Depth=1
                                        ;     Child Loop BB32_129 Depth 2
                                        ;     Child Loop BB32_23 Depth 2
	;; [unrolled: 1-line block ×5, first 2 shown]
                                        ;       Child Loop BB32_84 Depth 3
                                        ;       Child Loop BB32_69 Depth 3
	;; [unrolled: 1-line block ×3, first 2 shown]
                                        ;         Child Loop BB32_124 Depth 4
                                        ;     Child Loop BB32_140 Depth 2
                                        ;       Child Loop BB32_177 Depth 3
                                        ;       Child Loop BB32_162 Depth 3
	;; [unrolled: 1-line block ×3, first 2 shown]
                                        ;         Child Loop BB32_217 Depth 4
                                        ;     Child Loop BB32_227 Depth 2
                                        ;     Child Loop BB32_233 Depth 2
                                        ; implicit-def: $vgpr7
                                        ; implicit-def: $vgpr1
	buffer_store_dword v7, off, s[0:3], s32 offset:72 ; 4-byte Folded Spill
	s_nop 0
	buffer_store_dword v8, off, s[0:3], s32 offset:76 ; 4-byte Folded Spill
	s_and_saveexec_b64 s[12:13], s[4:5]
	s_xor_b64 s[12:13], exec, s[12:13]
	s_cbranch_execz .LBB32_10
; %bb.9:                                ;   in Loop: Header=BB32_8 Depth=1
	buffer_load_dword v7, off, s[0:3], s32 offset:64 ; 4-byte Folded Reload
	buffer_load_dword v8, off, s[0:3], s32 offset:68 ; 4-byte Folded Reload
                                        ; implicit-def: $vgpr26
	s_waitcnt vmcnt(0)
	global_load_dwordx2 v[11:12], v[7:8], off offset:20
	s_waitcnt vmcnt(0)
	buffer_store_dword v11, off, s[0:3], s32 offset:72 ; 4-byte Folded Spill
	s_nop 0
	buffer_store_dword v12, off, s[0:3], s32 offset:76 ; 4-byte Folded Spill
	global_load_dword v1, v[7:8], off
.LBB32_10:                              ;   in Loop: Header=BB32_8 Depth=1
	s_andn2_saveexec_b64 s[14:15], s[12:13]
	s_cbranch_execz .LBB32_26
; %bb.11:                               ;   in Loop: Header=BB32_8 Depth=1
	v_cmp_lt_i32_e32 vcc, 0, v26
	s_and_saveexec_b64 s[12:13], vcc
	s_cbranch_execz .LBB32_13
; %bb.12:                               ;   in Loop: Header=BB32_8 Depth=1
	buffer_load_dword v7, off, s[0:3], s32 offset:92 ; 4-byte Folded Reload
	buffer_load_dword v8, off, s[0:3], s32 offset:96 ; 4-byte Folded Reload
	s_waitcnt vmcnt(1)
	v_mov_b32_e32 v27, v7
	v_mov_b32_e32 v11, v7
	s_waitcnt vmcnt(0)
	v_lshlrev_b64 v[7:8], 3, v[26:27]
	v_mov_b32_e32 v12, v11
	v_add_co_u32_e32 v1, vcc, v5, v7
	v_addc_co_u32_e32 v8, vcc, v6, v8, vcc
	v_add_co_u32_e32 v7, vcc, -8, v1
	v_addc_co_u32_e32 v8, vcc, -1, v8, vcc
	v_mov_b32_e32 v1, v11
	buffer_store_dword v1, off, s[0:3], s32 offset:92 ; 4-byte Folded Spill
	s_nop 0
	buffer_store_dword v2, off, s[0:3], s32 offset:96 ; 4-byte Folded Spill
	flat_store_dwordx2 v[7:8], v[11:12]
.LBB32_13:                              ;   in Loop: Header=BB32_8 Depth=1
	s_or_b64 exec, exec, s[12:13]
	buffer_load_dword v7, off, s[0:3], s32 offset:120 ; 4-byte Folded Reload
	buffer_load_dword v8, off, s[0:3], s32 offset:124 ; 4-byte Folded Reload
	s_mov_b64 s[26:27], 0
	v_ashrrev_i32_e32 v27, 31, v26
	s_mov_b64 s[12:13], 0
                                        ; implicit-def: $vgpr11_vgpr12
	s_waitcnt vmcnt(0)
	v_cmp_ge_i32_e32 vcc, v26, v7
	s_and_saveexec_b64 s[24:25], vcc
	s_xor_b64 s[24:25], exec, s[24:25]
; %bb.14:                               ;   in Loop: Header=BB32_8 Depth=1
	v_mov_b32_e32 v11, v26
	s_mov_b64 s[12:13], exec
	v_mov_b32_e32 v12, v27
; %bb.15:                               ;   in Loop: Header=BB32_8 Depth=1
	s_or_saveexec_b64 s[24:25], s[24:25]
	v_mov_b32_e32 v18, v12
	v_mov_b32_e32 v13, v26
	v_mov_b32_e32 v17, v11
	s_xor_b64 exec, exec, s[24:25]
	s_cbranch_execnz .LBB32_127
; %bb.16:                               ;   in Loop: Header=BB32_8 Depth=1
	s_or_b64 exec, exec, s[24:25]
	s_and_saveexec_b64 s[24:25], s[12:13]
	s_cbranch_execnz .LBB32_132
.LBB32_17:                              ;   in Loop: Header=BB32_8 Depth=1
	s_or_b64 exec, exec, s[24:25]
	s_and_saveexec_b64 s[12:13], s[26:27]
	s_cbranch_execz .LBB32_19
.LBB32_18:                              ;   in Loop: Header=BB32_8 Depth=1
	buffer_load_dword v7, off, s[0:3], s32 offset:64 ; 4-byte Folded Reload
	buffer_load_dword v8, off, s[0:3], s32 offset:68 ; 4-byte Folded Reload
	s_waitcnt vmcnt(0)
	global_load_dword v1, v[7:8], off offset:4
	buffer_load_dword v13, off, s[0:3], s32 offset:80 ; 4-byte Folded Reload
	buffer_load_dword v14, off, s[0:3], s32 offset:84 ; 4-byte Folded Reload
	s_waitcnt vmcnt(0)
	ds_write_b32 v1, v13
	buffer_load_dword v7, off, s[0:3], s32 offset:92 ; 4-byte Folded Reload
	buffer_load_dword v8, off, s[0:3], s32 offset:96 ; 4-byte Folded Reload
	v_mov_b32_e32 v11, v13
	v_mov_b32_e32 v12, v14
	s_waitcnt vmcnt(0)
	v_mov_b32_e32 v8, v7
	v_mov_b32_e32 v1, v7
	buffer_store_dword v1, off, s[0:3], s32 offset:92 ; 4-byte Folded Spill
	s_nop 0
	buffer_store_dword v2, off, s[0:3], s32 offset:96 ; 4-byte Folded Spill
	flat_store_dwordx2 v[44:45], v[7:8]
	buffer_load_dword v17, off, s[0:3], s32 offset:224 ; 4-byte Folded Reload
	buffer_load_dword v18, off, s[0:3], s32 offset:228 ; 4-byte Folded Reload
.LBB32_19:                              ;   in Loop: Header=BB32_8 Depth=1
	s_or_b64 exec, exec, s[12:13]
	buffer_load_dword v19, off, s[0:3], s32 offset:64 ; 4-byte Folded Reload
	buffer_load_dword v20, off, s[0:3], s32 offset:68 ; 4-byte Folded Reload
	s_waitcnt vmcnt(0)
	v_lshlrev_b64 v[11:12], 3, v[11:12]
	v_add_co_u32_e32 v11, vcc, v23, v11
	v_addc_co_u32_e32 v12, vcc, v4, v12, vcc
	global_load_dword v1, v[19:20], off
	global_load_dwordx2 v[7:8], v[19:20], off offset:16
	s_waitcnt vmcnt(0)
	ds_write_b32 v1, v26
	ds_write_b32 v7, v26
	;; [unrolled: 1-line block ×3, first 2 shown]
	global_load_dword v7, v[19:20], off offset:32
	v_lshlrev_b64 v[19:20], 3, v[17:18]
	flat_load_dwordx2 v[11:12], v[11:12]
	v_add_co_u32_e32 v17, vcc, v23, v19
	v_addc_co_u32_e32 v18, vcc, v4, v20, vcc
	flat_load_dwordx2 v[27:28], v[17:18]
	buffer_load_dword v14, off, s[0:3], s32 offset:184 ; 4-byte Folded Reload
	s_waitcnt vmcnt(0)
	ds_write_b32 v7, v13
	v_add_u32_e32 v7, 1, v13
	s_waitcnt lgkmcnt(0)
	v_cmp_lt_f64_e64 s[24:25], |v[11:12]|, |v[27:28]|
	ds_write_b32 v14, v7
	s_and_saveexec_b64 s[12:13], s[24:25]
	s_cbranch_execz .LBB32_21
; %bb.20:                               ;   in Loop: Header=BB32_8 Depth=1
	ds_write_b32 v8, v26
	ds_write_b32 v1, v13
.LBB32_21:                              ;   in Loop: Header=BB32_8 Depth=1
	s_or_b64 exec, exec, s[12:13]
	v_and_b32_e32 v12, 0x7fffffff, v12
	v_cmp_lt_i32_e32 vcc, v26, v13
	s_and_saveexec_b64 s[24:25], vcc
	s_cbranch_execz .LBB32_25
; %bb.22:                               ;   in Loop: Header=BB32_8 Depth=1
	v_add_co_u32_e32 v19, vcc, v5, v19
	v_addc_co_u32_e32 v20, vcc, v6, v20, vcc
	s_mov_b64 s[26:27], 0
.LBB32_23:                              ;   Parent Loop BB32_8 Depth=1
                                        ; =>  This Inner Loop Header: Depth=2
	flat_load_dwordx2 v[27:28], v[19:20]
	flat_load_dwordx2 v[29:30], v[17:18]
	v_max_f64 v[11:12], v[11:12], v[11:12]
	v_add_co_u32_e32 v19, vcc, 8, v19
	v_add_u32_e32 v26, 1, v26
	v_addc_co_u32_e32 v20, vcc, 0, v20, vcc
	v_add_co_u32_e32 v17, vcc, 8, v17
	v_cmp_ge_i32_e64 s[12:13], v26, v13
	s_or_b64 s[26:27], s[12:13], s[26:27]
	v_addc_co_u32_e32 v18, vcc, 0, v18, vcc
	s_waitcnt vmcnt(0) lgkmcnt(0)
	v_max_f64 v[27:28], |v[27:28]|, |v[27:28]|
	v_max_f64 v[29:30], |v[29:30]|, |v[29:30]|
	v_max_f64 v[27:28], v[29:30], v[27:28]
	v_max_f64 v[11:12], v[11:12], v[27:28]
	s_andn2_b64 exec, exec, s[26:27]
	s_cbranch_execnz .LBB32_23
; %bb.24:                               ;   in Loop: Header=BB32_8 Depth=1
	s_or_b64 exec, exec, s[26:27]
.LBB32_25:                              ;   in Loop: Header=BB32_8 Depth=1
	s_or_b64 exec, exec, s[24:25]
	buffer_load_dword v13, off, s[0:3], s32 offset:64 ; 4-byte Folded Reload
	buffer_load_dword v14, off, s[0:3], s32 offset:68 ; 4-byte Folded Reload
	s_waitcnt vmcnt(0)
	global_load_dword v13, v[13:14], off offset:24
	s_waitcnt vmcnt(0)
	ds_write_b64 v13, v[11:12]
	v_mov_b32_e32 v12, v8
	buffer_store_dword v12, off, s[0:3], s32 offset:72 ; 4-byte Folded Spill
	s_nop 0
	buffer_store_dword v13, off, s[0:3], s32 offset:76 ; 4-byte Folded Spill
.LBB32_26:                              ;   in Loop: Header=BB32_8 Depth=1
	s_or_b64 exec, exec, s[14:15]
	s_waitcnt vmcnt(0) lgkmcnt(0)
	s_barrier
	buffer_load_dword v11, off, s[0:3], s32 offset:72 ; 4-byte Folded Reload
	buffer_load_dword v12, off, s[0:3], s32 offset:76 ; 4-byte Folded Reload
	s_waitcnt vmcnt(1)
	ds_read_b32 v7, v11
	ds_read_b32 v8, v1
	s_waitcnt lgkmcnt(0)
	v_cmp_ne_u32_e32 vcc, v7, v8
	s_waitcnt vmcnt(0)
	ds_read_b64 v[7:8], v12
	buffer_load_dword v12, off, s[0:3], s32 offset:212 ; 4-byte Folded Reload
	s_waitcnt lgkmcnt(0)
	v_cmp_neq_f64_e64 s[12:13], 0, v[7:8]
	s_and_b64 s[12:13], vcc, s[12:13]
	s_waitcnt vmcnt(0)
	v_mov_b32_e32 v11, v12
	s_and_saveexec_b64 s[24:25], s[12:13]
	s_cbranch_execz .LBB32_7
; %bb.27:                               ;   in Loop: Header=BB32_8 Depth=1
	buffer_load_dword v11, off, s[0:3], s32 offset:176 ; 4-byte Folded Reload
	buffer_load_dword v12, off, s[0:3], s32 offset:180 ; 4-byte Folded Reload
	s_waitcnt vmcnt(0)
	v_cmp_ngt_f64_e32 vcc, v[7:8], v[11:12]
	s_and_saveexec_b64 s[12:13], vcc
	s_xor_b64 s[12:13], exec, s[12:13]
	s_cbranch_execz .LBB32_35
; %bb.28:                               ;   in Loop: Header=BB32_8 Depth=1
	buffer_load_dword v11, off, s[0:3], s32 offset:188 ; 4-byte Folded Reload
	buffer_load_dword v12, off, s[0:3], s32 offset:192 ; 4-byte Folded Reload
	s_waitcnt vmcnt(0)
	v_cmp_lt_f64_e32 vcc, v[7:8], v[11:12]
	s_and_saveexec_b64 s[14:15], vcc
	s_cbranch_execz .LBB32_34
; %bb.29:                               ;   in Loop: Header=BB32_8 Depth=1
	buffer_load_dword v26, off, s[0:3], s32 offset:188 ; 4-byte Folded Reload
	buffer_load_dword v27, off, s[0:3], s32 offset:192 ; 4-byte Folded Reload
	;; [unrolled: 1-line block ×4, first 2 shown]
	s_waitcnt vmcnt(0)
	global_load_dword v21, v[17:18], off offset:16
	global_load_dword v22, v[17:18], off offset:32
	v_div_scale_f64 v[11:12], s[26:27], v[26:27], v[26:27], v[7:8]
	v_div_scale_f64 v[19:20], vcc, v[7:8], v[26:27], v[7:8]
	v_rcp_f64_e32 v[13:14], v[11:12]
	v_fma_f64 v[17:18], -v[11:12], v[13:14], 1.0
	v_fma_f64 v[13:14], v[13:14], v[17:18], v[13:14]
	v_fma_f64 v[17:18], -v[11:12], v[13:14], 1.0
	v_fma_f64 v[13:14], v[13:14], v[17:18], v[13:14]
	v_mul_f64 v[17:18], v[19:20], v[13:14]
	v_fma_f64 v[11:12], -v[11:12], v[17:18], v[19:20]
	v_div_fmas_f64 v[11:12], v[11:12], v[13:14], v[17:18]
	v_div_fixup_f64 v[7:8], v[11:12], v[26:27], v[7:8]
	s_waitcnt vmcnt(1)
	ds_read_b32 v13, v21
	s_waitcnt vmcnt(0)
	ds_read_b32 v11, v22
	s_and_saveexec_b64 s[26:27], s[8:9]
	s_cbranch_execz .LBB32_31
; %bb.30:                               ;   in Loop: Header=BB32_8 Depth=1
	s_waitcnt lgkmcnt(0)
	v_ashrrev_i32_e32 v12, 31, v11
	v_lshlrev_b64 v[17:18], 3, v[11:12]
	v_add_co_u32_e32 v17, vcc, v23, v17
	v_addc_co_u32_e32 v18, vcc, v4, v18, vcc
	flat_load_dwordx2 v[19:20], v[17:18]
	s_waitcnt vmcnt(0) lgkmcnt(0)
	v_mul_f64 v[19:20], v[7:8], v[19:20]
	flat_store_dwordx2 v[17:18], v[19:20]
.LBB32_31:                              ;   in Loop: Header=BB32_8 Depth=1
	s_or_b64 exec, exec, s[26:27]
	buffer_load_dword v17, off, s[0:3], s32 offset:128 ; 4-byte Folded Reload
	buffer_load_dword v18, off, s[0:3], s32 offset:132 ; 4-byte Folded Reload
	s_waitcnt vmcnt(0) lgkmcnt(0)
	v_add_u32_e32 v17, v13, v17
	v_cmp_lt_i32_e32 vcc, v17, v11
	s_and_b64 exec, exec, vcc
	s_cbranch_execz .LBB32_34
; %bb.32:                               ;   in Loop: Header=BB32_8 Depth=1
	v_ashrrev_i32_e32 v18, 31, v17
	v_lshlrev_b64 v[12:13], 3, v[17:18]
	s_mov_b64 s[26:27], 0
.LBB32_33:                              ;   Parent Loop BB32_8 Depth=1
                                        ; =>  This Inner Loop Header: Depth=2
	v_add_co_u32_e32 v18, vcc, v23, v12
	v_addc_co_u32_e32 v19, vcc, v4, v13, vcc
	flat_load_dwordx2 v[26:27], v[18:19]
	v_add_co_u32_e32 v28, vcc, v5, v12
	v_addc_co_u32_e32 v29, vcc, v6, v13, vcc
	v_add_co_u32_e32 v12, vcc, v12, v36
	v_add_u32_e32 v17, v17, v24
	v_addc_co_u32_e32 v13, vcc, v13, v37, vcc
	v_cmp_ge_i32_e32 vcc, v17, v11
	s_or_b64 s[26:27], vcc, s[26:27]
	s_waitcnt vmcnt(0) lgkmcnt(0)
	v_mul_f64 v[26:27], v[7:8], v[26:27]
	flat_store_dwordx2 v[18:19], v[26:27]
	flat_load_dwordx2 v[18:19], v[28:29]
	s_waitcnt vmcnt(0) lgkmcnt(0)
	v_mul_f64 v[18:19], v[7:8], v[18:19]
	flat_store_dwordx2 v[28:29], v[18:19]
	s_andn2_b64 exec, exec, s[26:27]
	s_cbranch_execnz .LBB32_33
.LBB32_34:                              ;   in Loop: Header=BB32_8 Depth=1
	s_or_b64 exec, exec, s[14:15]
                                        ; implicit-def: $vgpr7_vgpr8
.LBB32_35:                              ;   in Loop: Header=BB32_8 Depth=1
	s_andn2_saveexec_b64 s[12:13], s[12:13]
	s_cbranch_execz .LBB32_42
; %bb.36:                               ;   in Loop: Header=BB32_8 Depth=1
	buffer_load_dword v26, off, s[0:3], s32 offset:176 ; 4-byte Folded Reload
	buffer_load_dword v27, off, s[0:3], s32 offset:180 ; 4-byte Folded Reload
	;; [unrolled: 1-line block ×4, first 2 shown]
	s_waitcnt vmcnt(0)
	global_load_dword v21, v[17:18], off offset:16
	global_load_dword v22, v[17:18], off offset:32
	v_div_scale_f64 v[11:12], s[14:15], v[26:27], v[26:27], v[7:8]
	v_div_scale_f64 v[19:20], vcc, v[7:8], v[26:27], v[7:8]
	v_rcp_f64_e32 v[13:14], v[11:12]
	v_fma_f64 v[17:18], -v[11:12], v[13:14], 1.0
	v_fma_f64 v[13:14], v[13:14], v[17:18], v[13:14]
	v_fma_f64 v[17:18], -v[11:12], v[13:14], 1.0
	v_fma_f64 v[13:14], v[13:14], v[17:18], v[13:14]
	v_mul_f64 v[17:18], v[19:20], v[13:14]
	v_fma_f64 v[11:12], -v[11:12], v[17:18], v[19:20]
	v_div_fmas_f64 v[11:12], v[11:12], v[13:14], v[17:18]
	v_div_fixup_f64 v[7:8], v[11:12], v[26:27], v[7:8]
	s_waitcnt vmcnt(0)
	ds_read_b32 v13, v21
	ds_read_b32 v11, v22
	s_and_saveexec_b64 s[14:15], s[8:9]
	s_cbranch_execz .LBB32_38
; %bb.37:                               ;   in Loop: Header=BB32_8 Depth=1
	s_waitcnt lgkmcnt(0)
	v_ashrrev_i32_e32 v12, 31, v11
	v_lshlrev_b64 v[17:18], 3, v[11:12]
	v_add_co_u32_e32 v17, vcc, v23, v17
	v_addc_co_u32_e32 v18, vcc, v4, v18, vcc
	flat_load_dwordx2 v[19:20], v[17:18]
	s_waitcnt vmcnt(0) lgkmcnt(0)
	v_mul_f64 v[19:20], v[7:8], v[19:20]
	flat_store_dwordx2 v[17:18], v[19:20]
.LBB32_38:                              ;   in Loop: Header=BB32_8 Depth=1
	s_or_b64 exec, exec, s[14:15]
	buffer_load_dword v17, off, s[0:3], s32 offset:128 ; 4-byte Folded Reload
	buffer_load_dword v18, off, s[0:3], s32 offset:132 ; 4-byte Folded Reload
	s_waitcnt vmcnt(0) lgkmcnt(0)
	v_add_u32_e32 v17, v13, v17
	v_cmp_lt_i32_e32 vcc, v17, v11
	s_and_saveexec_b64 s[14:15], vcc
	s_cbranch_execz .LBB32_41
; %bb.39:                               ;   in Loop: Header=BB32_8 Depth=1
	v_ashrrev_i32_e32 v18, 31, v17
	v_lshlrev_b64 v[12:13], 3, v[17:18]
	s_mov_b64 s[26:27], 0
.LBB32_40:                              ;   Parent Loop BB32_8 Depth=1
                                        ; =>  This Inner Loop Header: Depth=2
	v_add_co_u32_e32 v18, vcc, v23, v12
	v_addc_co_u32_e32 v19, vcc, v4, v13, vcc
	flat_load_dwordx2 v[26:27], v[18:19]
	v_add_co_u32_e32 v28, vcc, v5, v12
	v_addc_co_u32_e32 v29, vcc, v6, v13, vcc
	v_add_co_u32_e32 v12, vcc, v12, v36
	v_add_u32_e32 v17, v17, v24
	v_addc_co_u32_e32 v13, vcc, v13, v37, vcc
	v_cmp_ge_i32_e32 vcc, v17, v11
	s_or_b64 s[26:27], vcc, s[26:27]
	s_waitcnt vmcnt(0) lgkmcnt(0)
	v_mul_f64 v[26:27], v[7:8], v[26:27]
	flat_store_dwordx2 v[18:19], v[26:27]
	flat_load_dwordx2 v[18:19], v[28:29]
	s_waitcnt vmcnt(0) lgkmcnt(0)
	v_mul_f64 v[18:19], v[7:8], v[18:19]
	flat_store_dwordx2 v[28:29], v[18:19]
	s_andn2_b64 exec, exec, s[26:27]
	s_cbranch_execnz .LBB32_40
.LBB32_41:                              ;   in Loop: Header=BB32_8 Depth=1
	s_or_b64 exec, exec, s[14:15]
.LBB32_42:                              ;   in Loop: Header=BB32_8 Depth=1
	s_or_b64 exec, exec, s[12:13]
	s_waitcnt vmcnt(0) lgkmcnt(0)
	s_barrier
	buffer_load_dword v7, off, s[0:3], s32 offset:72 ; 4-byte Folded Reload
	buffer_load_dword v8, off, s[0:3], s32 offset:76 ; 4-byte Folded Reload
	s_waitcnt vmcnt(1)
	ds_read_b32 v14, v7
	ds_read_b32 v60, v1
	buffer_load_dword v7, off, s[0:3], s32 offset:88 ; 4-byte Folded Reload
	s_waitcnt lgkmcnt(0)
	v_cmp_ge_i32_e32 vcc, v14, v60
	s_waitcnt vmcnt(0)
	ds_read_b32 v13, v7
	buffer_load_dword v7, off, s[0:3], s32 offset:100 ; 4-byte Folded Reload
	s_waitcnt vmcnt(0) lgkmcnt(0)
	v_cmp_lt_i32_e64 s[12:13], v13, v7
	s_and_saveexec_b64 s[14:15], vcc
	s_xor_b64 s[26:27], exec, s[14:15]
	s_cbranch_execz .LBB32_135
; %bb.43:                               ;   in Loop: Header=BB32_8 Depth=1
	s_and_saveexec_b64 s[28:29], s[12:13]
	s_cbranch_execz .LBB32_134
; %bb.44:                               ;   in Loop: Header=BB32_8 Depth=1
	s_mov_b64 s[40:41], 0
	s_branch .LBB32_47
.LBB32_45:                              ;   in Loop: Header=BB32_47 Depth=2
	s_or_b64 exec, exec, s[44:45]
	s_waitcnt vmcnt(0) lgkmcnt(0)
	s_barrier
	ds_read_b32 v60, v1
.LBB32_46:                              ;   in Loop: Header=BB32_47 Depth=2
	s_or_b64 exec, exec, s[42:43]
	buffer_load_dword v7, off, s[0:3], s32 offset:72 ; 4-byte Folded Reload
	buffer_load_dword v8, off, s[0:3], s32 offset:76 ; 4-byte Folded Reload
	s_waitcnt vmcnt(1)
	ds_read_b32 v14, v7
	buffer_load_dword v7, off, s[0:3], s32 offset:88 ; 4-byte Folded Reload
	s_waitcnt lgkmcnt(0)
	v_cmp_gt_i32_e32 vcc, v60, v14
	s_waitcnt vmcnt(0)
	ds_read_b32 v13, v7
	buffer_load_dword v7, off, s[0:3], s32 offset:100 ; 4-byte Folded Reload
	s_waitcnt vmcnt(0) lgkmcnt(0)
	v_cmp_ge_i32_e64 s[14:15], v13, v7
	s_or_b64 s[14:15], vcc, s[14:15]
	s_and_b64 s[14:15], exec, s[14:15]
	s_or_b64 s[40:41], s[14:15], s[40:41]
	s_andn2_b64 exec, exec, s[40:41]
	s_cbranch_execz .LBB32_133
.LBB32_47:                              ;   Parent Loop BB32_8 Depth=1
                                        ; =>  This Loop Header: Depth=2
                                        ;       Child Loop BB32_84 Depth 3
                                        ;       Child Loop BB32_69 Depth 3
	;; [unrolled: 1-line block ×3, first 2 shown]
                                        ;         Child Loop BB32_124 Depth 4
                                        ; implicit-def: $vgpr50
	s_and_saveexec_b64 s[14:15], s[4:5]
	s_xor_b64 s[14:15], exec, s[14:15]
	s_cbranch_execz .LBB32_49
; %bb.48:                               ;   in Loop: Header=BB32_47 Depth=2
	buffer_load_dword v7, off, s[0:3], s32 offset:64 ; 4-byte Folded Reload
	buffer_load_dword v8, off, s[0:3], s32 offset:68 ; 4-byte Folded Reload
                                        ; implicit-def: $vgpr60
                                        ; implicit-def: $vgpr14
                                        ; implicit-def: $vgpr13
	s_waitcnt vmcnt(0)
	global_load_dword v50, v[7:8], off offset:4
.LBB32_49:                              ;   in Loop: Header=BB32_47 Depth=2
	s_andn2_saveexec_b64 s[42:43], s[14:15]
	s_cbranch_execz .LBB32_118
; %bb.50:                               ;   in Loop: Header=BB32_47 Depth=2
	v_cmp_ge_i32_e32 vcc, v60, v14
	s_mov_b64 s[46:47], 0
	v_ashrrev_i32_e32 v61, 31, v60
	s_mov_b64 s[14:15], 0
                                        ; implicit-def: $vgpr7_vgpr8
	s_and_saveexec_b64 s[44:45], vcc
	s_xor_b64 s[44:45], exec, s[44:45]
	s_cbranch_execnz .LBB32_81
; %bb.51:                               ;   in Loop: Header=BB32_47 Depth=2
	s_or_saveexec_b64 s[44:45], s[44:45]
	v_mov_b32_e32 v28, v60
	s_xor_b64 exec, exec, s[44:45]
	s_cbranch_execnz .LBB32_82
.LBB32_52:                              ;   in Loop: Header=BB32_47 Depth=2
	s_or_b64 exec, exec, s[44:45]
                                        ; implicit-def: $vgpr50
	s_and_saveexec_b64 s[44:45], s[14:15]
	s_cbranch_execnz .LBB32_87
.LBB32_53:                              ;   in Loop: Header=BB32_47 Depth=2
	s_or_b64 exec, exec, s[44:45]
	s_and_saveexec_b64 s[14:15], s[46:47]
	s_cbranch_execz .LBB32_55
.LBB32_54:                              ;   in Loop: Header=BB32_47 Depth=2
	buffer_load_dword v7, off, s[0:3], s32 offset:64 ; 4-byte Folded Reload
	buffer_load_dword v8, off, s[0:3], s32 offset:68 ; 4-byte Folded Reload
	v_mov_b32_e32 v28, v16
	s_waitcnt vmcnt(0)
	global_load_dword v50, v[7:8], off offset:4
	s_nop 0
	global_load_dword v7, v[7:8], off offset:16
	s_waitcnt vmcnt(1)
	ds_write_b32 v50, v16
	s_waitcnt vmcnt(0)
	ds_write_b32 v7, v60
	buffer_load_dword v7, off, s[0:3], s32 offset:92 ; 4-byte Folded Reload
	buffer_load_dword v8, off, s[0:3], s32 offset:96 ; 4-byte Folded Reload
	s_waitcnt vmcnt(1)
	v_mov_b32_e32 v11, v7
	v_mov_b32_e32 v12, v7
	buffer_store_dword v7, off, s[0:3], s32 offset:92 ; 4-byte Folded Spill
	s_waitcnt vmcnt(1)
	buffer_store_dword v8, off, s[0:3], s32 offset:96 ; 4-byte Folded Spill
	flat_store_dwordx2 v[56:57], v[11:12]
	buffer_load_dword v7, off, s[0:3], s32 offset:152 ; 4-byte Folded Reload
	s_nop 0
	buffer_load_dword v8, off, s[0:3], s32 offset:156 ; 4-byte Folded Reload
.LBB32_55:                              ;   in Loop: Header=BB32_47 Depth=2
	s_or_b64 exec, exec, s[14:15]
	s_waitcnt vmcnt(0)
	v_lshlrev_b64 v[61:62], 3, v[7:8]
	buffer_load_dword v7, off, s[0:3], s32 offset:64 ; 4-byte Folded Reload
	buffer_load_dword v8, off, s[0:3], s32 offset:68 ; 4-byte Folded Reload
	v_add_co_u32_e32 v26, vcc, v23, v61
	v_addc_co_u32_e32 v27, vcc, v4, v62, vcc
	v_cmp_ne_u32_e32 vcc, v28, v60
	s_waitcnt vmcnt(0)
	global_load_dword v58, v[7:8], off offset:8
	flat_load_dwordx2 v[32:33], v[26:27]
	v_add_u32_e32 v7, 1, v60
	s_waitcnt vmcnt(0) lgkmcnt(0)
	ds_write_b64 v58, v[32:33]
	s_and_saveexec_b64 s[14:15], vcc
	s_xor_b64 s[44:45], exec, s[14:15]
	s_cbranch_execz .LBB32_115
; %bb.56:                               ;   in Loop: Header=BB32_47 Depth=2
	v_cmp_ne_u32_e32 vcc, v28, v7
	s_and_saveexec_b64 s[14:15], vcc
	s_xor_b64 s[46:47], exec, s[14:15]
	s_cbranch_execz .LBB32_91
; %bb.57:                               ;   in Loop: Header=BB32_47 Depth=2
	buffer_load_dword v8, off, s[0:3], s32 offset:88 ; 4-byte Folded Reload
	v_add_co_u32_e32 v11, vcc, v5, v61
	v_add_u32_e32 v7, 1, v13
	v_addc_co_u32_e32 v12, vcc, v6, v62, vcc
	v_mov_b32_e32 v21, 0xffffff80
	v_ashrrev_i32_e32 v29, 31, v28
	s_waitcnt vmcnt(0)
	ds_write_b32 v8, v7
	flat_load_dwordx2 v[7:8], v[26:27] offset:8
	s_nop 0
	buffer_store_dword v11, off, s[0:3], s32 offset:216 ; 4-byte Folded Spill
	s_nop 0
	buffer_store_dword v12, off, s[0:3], s32 offset:220 ; 4-byte Folded Spill
	flat_load_dwordx2 v[17:18], v[11:12]
	s_waitcnt vmcnt(0) lgkmcnt(0)
	v_add_f64 v[7:8], v[7:8], -v[32:33]
	v_add_f64 v[11:12], v[17:18], v[17:18]
	v_div_scale_f64 v[13:14], s[14:15], v[11:12], v[11:12], v[7:8]
	v_rcp_f64_e32 v[19:20], v[13:14]
	v_fma_f64 v[38:39], -v[13:14], v[19:20], 1.0
	v_fma_f64 v[19:20], v[19:20], v[38:39], v[19:20]
	v_fma_f64 v[38:39], -v[13:14], v[19:20], 1.0
	v_fma_f64 v[19:20], v[19:20], v[38:39], v[19:20]
	v_div_scale_f64 v[38:39], vcc, v[7:8], v[11:12], v[7:8]
	v_mul_f64 v[51:52], v[38:39], v[19:20]
	v_fma_f64 v[13:14], -v[13:14], v[51:52], v[38:39]
	s_nop 1
	v_div_fmas_f64 v[13:14], v[13:14], v[19:20], v[51:52]
	v_mov_b32_e32 v19, 0x100
	v_div_fixup_f64 v[13:14], v[13:14], v[11:12], v[7:8]
	v_mov_b32_e32 v11, 0
	v_mov_b32_e32 v12, 0
	v_fma_f64 v[7:8], v[13:14], v[13:14], 1.0
	v_cmp_nle_f64_e32 vcc, 0, v[13:14]
	v_cmp_gt_f64_e64 s[14:15], s[20:21], v[7:8]
	v_cndmask_b32_e64 v19, 0, v19, s[14:15]
	v_ldexp_f64 v[7:8], v[7:8], v19
	v_cndmask_b32_e64 v21, 0, v21, s[14:15]
	v_rsq_f64_e32 v[19:20], v[7:8]
	v_mul_f64 v[38:39], v[7:8], v[19:20]
	v_mul_f64 v[19:20], v[19:20], 0.5
	v_fma_f64 v[51:52], -v[19:20], v[38:39], 0.5
	v_fma_f64 v[38:39], v[38:39], v[51:52], v[38:39]
	v_fma_f64 v[19:20], v[19:20], v[51:52], v[19:20]
	v_fma_f64 v[54:55], -v[38:39], v[38:39], v[7:8]
	v_fma_f64 v[38:39], v[54:55], v[19:20], v[38:39]
	v_fma_f64 v[51:52], -v[38:39], v[38:39], v[7:8]
	v_fma_f64 v[19:20], v[51:52], v[19:20], v[38:39]
	v_ldexp_f64 v[19:20], v[19:20], v21
	v_mov_b32_e32 v21, 0x260
	v_cmp_class_f64_e64 s[14:15], v[7:8], v21
	v_cndmask_b32_e64 v8, v20, v8, s[14:15]
	v_cndmask_b32_e64 v19, v19, v7, s[14:15]
	v_and_b32_e32 v7, 0x7fffffff, v8
	v_or_b32_e32 v8, 0x80000000, v8
	v_cndmask_b32_e32 v20, v7, v8, vcc
	v_lshlrev_b64 v[7:8], 3, v[28:29]
	v_add_f64 v[13:14], v[13:14], v[19:20]
	v_add_co_u32_e32 v7, vcc, v23, v7
	v_addc_co_u32_e32 v8, vcc, v4, v8, vcc
	flat_load_dwordx2 v[38:39], v[7:8]
	v_div_scale_f64 v[19:20], s[14:15], v[13:14], v[13:14], v[17:18]
	s_waitcnt vmcnt(0) lgkmcnt(0)
	v_add_f64 v[32:33], v[38:39], -v[32:33]
	v_rcp_f64_e32 v[38:39], v[19:20]
	v_fma_f64 v[51:52], -v[19:20], v[38:39], 1.0
	v_fma_f64 v[38:39], v[38:39], v[51:52], v[38:39]
	v_fma_f64 v[51:52], -v[19:20], v[38:39], 1.0
	v_fma_f64 v[38:39], v[38:39], v[51:52], v[38:39]
	v_div_scale_f64 v[51:52], vcc, v[17:18], v[13:14], v[17:18]
	v_mul_f64 v[54:55], v[51:52], v[38:39]
	v_fma_f64 v[19:20], -v[19:20], v[54:55], v[51:52]
	s_nop 1
	v_div_fmas_f64 v[19:20], v[19:20], v[38:39], v[54:55]
	v_cmp_gt_i32_e32 vcc, v28, v60
	v_div_fixup_f64 v[13:14], v[19:20], v[13:14], v[17:18]
	v_add_f64 v[61:62], v[32:33], v[13:14]
	buffer_load_dword v13, off, s[0:3], s32 offset:92 ; 4-byte Folded Reload
	buffer_load_dword v14, off, s[0:3], s32 offset:96 ; 4-byte Folded Reload
	s_waitcnt vmcnt(1)
	v_mov_b32_e32 v17, v13
	v_mov_b32_e32 v18, v13
	buffer_store_dword v13, off, s[0:3], s32 offset:92 ; 4-byte Folded Spill
	s_waitcnt vmcnt(1)
	buffer_store_dword v14, off, s[0:3], s32 offset:96 ; 4-byte Folded Spill
	ds_write_b64 v58, v[17:18]
	s_and_saveexec_b64 s[14:15], vcc
	s_cbranch_execz .LBB32_90
; %bb.58:                               ;   in Loop: Header=BB32_47 Depth=2
	v_add_u32_e32 v32, -1, v28
	v_ashrrev_i32_e32 v33, 31, v32
	v_lshlrev_b64 v[17:18], 3, v[32:33]
	v_mov_b32_e32 v38, 0
	v_add_co_u32_e32 v54, vcc, v5, v17
	v_addc_co_u32_e32 v55, vcc, v6, v18, vcc
	flat_load_dwordx2 v[11:12], v[54:55]
	v_mov_b32_e32 v19, 0
	v_mov_b32_e32 v39, 0
	;; [unrolled: 1-line block ×3, first 2 shown]
	s_waitcnt vmcnt(0) lgkmcnt(0)
	v_cmp_neq_f64_e32 vcc, 0, v[11:12]
	s_and_saveexec_b64 s[56:57], vcc
	s_cbranch_execz .LBB32_66
; %bb.59:                               ;   in Loop: Header=BB32_47 Depth=2
	v_cmp_neq_f64_e32 vcc, 0, v[61:62]
	v_mov_b32_e32 v19, 0
	v_mov_b32_e32 v38, 0
	;; [unrolled: 1-line block ×4, first 2 shown]
	s_and_saveexec_b64 s[58:59], vcc
	s_cbranch_execz .LBB32_65
; %bb.60:                               ;   in Loop: Header=BB32_47 Depth=2
	v_cmp_ngt_f64_e64 s[60:61], |v[11:12]|, |v[61:62]|
                                        ; implicit-def: $vgpr38_vgpr39
                                        ; implicit-def: $vgpr19_vgpr20
	s_and_saveexec_b64 s[62:63], s[60:61]
	s_xor_b64 s[60:61], exec, s[62:63]
	s_cbranch_execz .LBB32_62
; %bb.61:                               ;   in Loop: Header=BB32_47 Depth=2
	v_div_scale_f64 v[13:14], s[62:63], v[61:62], v[61:62], -v[11:12]
	v_mov_b32_e32 v21, 0x100
	v_rcp_f64_e32 v[19:20], v[13:14]
	v_fma_f64 v[38:39], -v[13:14], v[19:20], 1.0
	v_fma_f64 v[19:20], v[19:20], v[38:39], v[19:20]
	v_div_scale_f64 v[38:39], vcc, -v[11:12], v[61:62], -v[11:12]
	v_fma_f64 v[51:52], -v[13:14], v[19:20], 1.0
	v_fma_f64 v[19:20], v[19:20], v[51:52], v[19:20]
	v_mul_f64 v[51:52], v[38:39], v[19:20]
	v_fma_f64 v[13:14], -v[13:14], v[51:52], v[38:39]
	v_div_fmas_f64 v[13:14], v[13:14], v[19:20], v[51:52]
	v_div_fixup_f64 v[13:14], v[13:14], v[61:62], -v[11:12]
                                        ; implicit-def: $vgpr61_vgpr62
	v_fma_f64 v[19:20], v[13:14], v[13:14], 1.0
	v_cmp_gt_f64_e32 vcc, s[20:21], v[19:20]
	v_cndmask_b32_e32 v21, 0, v21, vcc
	v_ldexp_f64 v[19:20], v[19:20], v21
	v_mov_b32_e32 v21, 0xffffff80
	v_cndmask_b32_e32 v21, 0, v21, vcc
	v_rsq_f64_e32 v[38:39], v[19:20]
	v_mul_f64 v[51:52], v[19:20], v[38:39]
	v_mul_f64 v[38:39], v[38:39], 0.5
	v_fma_f64 v[40:41], -v[38:39], v[51:52], 0.5
	v_fma_f64 v[51:52], v[51:52], v[40:41], v[51:52]
	v_fma_f64 v[38:39], v[38:39], v[40:41], v[38:39]
	v_fma_f64 v[40:41], -v[51:52], v[51:52], v[19:20]
	v_fma_f64 v[51:52], v[40:41], v[38:39], v[51:52]
	v_fma_f64 v[40:41], -v[51:52], v[51:52], v[19:20]
	v_fma_f64 v[38:39], v[40:41], v[38:39], v[51:52]
	v_ldexp_f64 v[38:39], v[38:39], v21
	v_mov_b32_e32 v21, 0x260
	v_cmp_class_f64_e32 vcc, v[19:20], v21
	v_cndmask_b32_e32 v20, v39, v20, vcc
	v_cndmask_b32_e32 v19, v38, v19, vcc
	v_div_scale_f64 v[38:39], s[62:63], v[19:20], v[19:20], 1.0
	v_div_scale_f64 v[42:43], vcc, 1.0, v[19:20], 1.0
	v_rcp_f64_e32 v[51:52], v[38:39]
	v_fma_f64 v[40:41], -v[38:39], v[51:52], 1.0
	v_fma_f64 v[51:52], v[51:52], v[40:41], v[51:52]
	v_fma_f64 v[40:41], -v[38:39], v[51:52], 1.0
	v_fma_f64 v[51:52], v[51:52], v[40:41], v[51:52]
	v_mul_f64 v[40:41], v[42:43], v[51:52]
	v_fma_f64 v[38:39], -v[38:39], v[40:41], v[42:43]
	v_div_fmas_f64 v[38:39], v[38:39], v[51:52], v[40:41]
	v_div_fixup_f64 v[19:20], v[38:39], v[19:20], 1.0
	v_mul_f64 v[38:39], v[13:14], v[19:20]
.LBB32_62:                              ;   in Loop: Header=BB32_47 Depth=2
	s_andn2_saveexec_b64 s[60:61], s[60:61]
	s_cbranch_execz .LBB32_64
; %bb.63:                               ;   in Loop: Header=BB32_47 Depth=2
	v_div_scale_f64 v[13:14], s[62:63], v[11:12], v[11:12], -v[61:62]
	v_mov_b32_e32 v21, 0x100
	v_rcp_f64_e32 v[19:20], v[13:14]
	v_fma_f64 v[38:39], -v[13:14], v[19:20], 1.0
	v_fma_f64 v[19:20], v[19:20], v[38:39], v[19:20]
	v_div_scale_f64 v[38:39], vcc, -v[61:62], v[11:12], -v[61:62]
	v_fma_f64 v[51:52], -v[13:14], v[19:20], 1.0
	v_fma_f64 v[19:20], v[19:20], v[51:52], v[19:20]
	v_mul_f64 v[51:52], v[38:39], v[19:20]
	v_fma_f64 v[13:14], -v[13:14], v[51:52], v[38:39]
	v_div_fmas_f64 v[13:14], v[13:14], v[19:20], v[51:52]
	v_div_fixup_f64 v[13:14], v[13:14], v[11:12], -v[61:62]
	v_fma_f64 v[19:20], v[13:14], v[13:14], 1.0
	v_cmp_gt_f64_e32 vcc, s[20:21], v[19:20]
	v_cndmask_b32_e32 v21, 0, v21, vcc
	v_ldexp_f64 v[19:20], v[19:20], v21
	v_mov_b32_e32 v21, 0xffffff80
	v_cndmask_b32_e32 v21, 0, v21, vcc
	v_rsq_f64_e32 v[38:39], v[19:20]
	v_mul_f64 v[51:52], v[19:20], v[38:39]
	v_mul_f64 v[38:39], v[38:39], 0.5
	v_fma_f64 v[40:41], -v[38:39], v[51:52], 0.5
	v_fma_f64 v[51:52], v[51:52], v[40:41], v[51:52]
	v_fma_f64 v[38:39], v[38:39], v[40:41], v[38:39]
	v_fma_f64 v[40:41], -v[51:52], v[51:52], v[19:20]
	v_fma_f64 v[51:52], v[40:41], v[38:39], v[51:52]
	v_fma_f64 v[40:41], -v[51:52], v[51:52], v[19:20]
	v_fma_f64 v[38:39], v[40:41], v[38:39], v[51:52]
	v_ldexp_f64 v[38:39], v[38:39], v21
	v_mov_b32_e32 v21, 0x260
	v_cmp_class_f64_e32 vcc, v[19:20], v21
	v_cndmask_b32_e32 v20, v39, v20, vcc
	v_cndmask_b32_e32 v19, v38, v19, vcc
	v_div_scale_f64 v[38:39], s[62:63], v[19:20], v[19:20], 1.0
	v_div_scale_f64 v[42:43], vcc, 1.0, v[19:20], 1.0
	v_rcp_f64_e32 v[51:52], v[38:39]
	v_fma_f64 v[40:41], -v[38:39], v[51:52], 1.0
	v_fma_f64 v[51:52], v[51:52], v[40:41], v[51:52]
	v_fma_f64 v[40:41], -v[38:39], v[51:52], 1.0
	v_fma_f64 v[51:52], v[51:52], v[40:41], v[51:52]
	v_mul_f64 v[40:41], v[42:43], v[51:52]
	v_fma_f64 v[38:39], -v[38:39], v[40:41], v[42:43]
	v_div_fmas_f64 v[38:39], v[38:39], v[51:52], v[40:41]
	v_div_fixup_f64 v[38:39], v[38:39], v[19:20], 1.0
	v_mul_f64 v[19:20], v[13:14], v[38:39]
.LBB32_64:                              ;   in Loop: Header=BB32_47 Depth=2
	s_or_b64 exec, exec, s[60:61]
.LBB32_65:                              ;   in Loop: Header=BB32_47 Depth=2
	s_or_b64 exec, exec, s[58:59]
.LBB32_66:                              ;   in Loop: Header=BB32_47 Depth=2
	s_or_b64 exec, exec, s[56:57]
	v_add_co_u32_e32 v13, vcc, -8, v7
	v_addc_co_u32_e32 v14, vcc, -1, v8, vcc
	flat_load_dwordx4 v[40:43], v[13:14]
	v_add_f64 v[51:52], v[19:20], v[19:20]
	s_waitcnt vmcnt(0) lgkmcnt(0)
	v_add_f64 v[13:14], v[40:41], -v[42:43]
	v_mul_f64 v[13:14], v[38:39], v[13:14]
	v_fma_f64 v[13:14], v[11:12], v[51:52], -v[13:14]
	v_mul_f64 v[51:52], v[13:14], -v[38:39]
	v_fma_f64 v[61:62], v[19:20], v[13:14], -v[11:12]
	ds_write_b64 v58, v[51:52]
	v_fma_f64 v[51:52], v[13:14], -v[38:39], v[42:43]
	flat_store_dwordx2 v[7:8], v[51:52]
	buffer_load_dword v7, off, s[0:3], s32 offset:140 ; 4-byte Folded Reload
	s_nop 0
	buffer_load_dword v8, off, s[0:3], s32 offset:136 ; 4-byte Folded Reload
	s_waitcnt vmcnt(0)
	v_add_co_u32_e32 v7, vcc, v7, v17
	v_addc_co_u32_e32 v8, vcc, v8, v18, vcc
	flat_store_dwordx2 v[7:8], v[19:20]
	buffer_load_dword v11, off, s[0:3], s32 offset:104 ; 4-byte Folded Reload
	buffer_load_dword v12, off, s[0:3], s32 offset:108 ; 4-byte Folded Reload
	s_waitcnt vmcnt(0)
	v_add_co_u32_e32 v7, vcc, v7, v11
	v_addc_co_u32_e32 v8, vcc, v8, v12, vcc
	v_cmp_gt_i32_e32 vcc, v32, v60
	flat_store_dwordx2 v[7:8], v[38:39]
	s_and_saveexec_b64 s[56:57], vcc
	s_cbranch_execz .LBB32_89
; %bb.67:                               ;   in Loop: Header=BB32_47 Depth=2
	buffer_load_dword v7, off, s[0:3], s32 offset:196 ; 4-byte Folded Reload
	buffer_load_dword v8, off, s[0:3], s32 offset:200 ; 4-byte Folded Reload
	;; [unrolled: 1-line block ×3, first 2 shown]
	v_add_u32_e32 v11, -2, v28
	v_ashrrev_i32_e32 v12, 31, v11
	v_lshlrev_b64 v[11:12], 3, v[11:12]
	v_xor_b32_e32 v39, 0x80000000, v39
	s_mov_b32 s74, -1
	s_mov_b64 s[58:59], 0
	s_waitcnt vmcnt(0)
	v_add_co_u32_e32 v7, vcc, v7, v17
	v_addc_co_u32_e32 v8, vcc, v8, v18, vcc
	v_add_co_u32_e32 v17, vcc, v13, v11
	buffer_load_dword v13, off, s[0:3], s32 offset:136 ; 4-byte Folded Reload
	s_waitcnt vmcnt(0)
	v_addc_co_u32_e32 v18, vcc, v13, v12, vcc
	v_add_co_u32_e32 v51, vcc, v5, v11
	v_addc_co_u32_e32 v52, vcc, v6, v12, vcc
	s_branch .LBB32_69
.LBB32_68:                              ;   in Loop: Header=BB32_69 Depth=3
	v_mul_f64 v[19:20], v[19:20], v[11:12]
	flat_load_dwordx4 v[11:14], v[7:8]
	ds_read_b64 v[21:22], v58
	s_add_i32 s74, s74, -1
	v_xor_b32_e32 v39, 0x80000000, v41
	v_mov_b32_e32 v38, v40
	s_waitcnt vmcnt(0) lgkmcnt(0)
	v_add_f64 v[13:14], v[13:14], -v[21:22]
	v_add_f64 v[21:22], v[32:33], v[32:33]
	v_add_f64 v[11:12], v[11:12], -v[13:14]
	v_mul_f64 v[11:12], v[40:41], v[11:12]
	v_fma_f64 v[11:12], v[19:20], v[21:22], -v[11:12]
	v_mul_f64 v[21:22], v[11:12], -v[40:41]
	v_fma_f64 v[13:14], v[11:12], -v[40:41], v[13:14]
	v_fma_f64 v[61:62], v[32:33], v[11:12], -v[19:20]
	v_mov_b32_e32 v19, v32
	v_mov_b32_e32 v20, v33
	ds_write_b64 v58, v[21:22]
	flat_store_dwordx2 v[7:8], v[13:14] offset:8
	flat_store_dwordx2 v[17:18], v[32:33]
	buffer_load_dword v11, off, s[0:3], s32 offset:104 ; 4-byte Folded Reload
	buffer_load_dword v12, off, s[0:3], s32 offset:108 ; 4-byte Folded Reload
	s_waitcnt vmcnt(0)
	v_add_co_u32_e32 v11, vcc, v17, v11
	v_addc_co_u32_e32 v12, vcc, v18, v12, vcc
	v_add_co_u32_e32 v7, vcc, -8, v7
	v_addc_co_u32_e32 v8, vcc, -1, v8, vcc
	v_add_co_u32_e32 v54, vcc, -8, v54
	v_addc_co_u32_e32 v55, vcc, -1, v55, vcc
	;; [unrolled: 2-line block ×3, first 2 shown]
	v_add_co_u32_e32 v51, vcc, -8, v51
	flat_store_dwordx2 v[11:12], v[40:41]
	v_addc_co_u32_e32 v52, vcc, -1, v52, vcc
	v_add_u32_e32 v11, s74, v28
	v_cmp_le_i32_e32 vcc, v11, v60
	s_or_b64 s[58:59], vcc, s[58:59]
	s_andn2_b64 exec, exec, s[58:59]
	s_cbranch_execz .LBB32_88
.LBB32_69:                              ;   Parent Loop BB32_8 Depth=1
                                        ;     Parent Loop BB32_47 Depth=2
                                        ; =>    This Inner Loop Header: Depth=3
	flat_load_dwordx2 v[11:12], v[51:52]
	v_mov_b32_e32 v40, 0
	v_mov_b32_e32 v32, 0
	;; [unrolled: 1-line block ×4, first 2 shown]
	s_waitcnt vmcnt(0) lgkmcnt(0)
	v_mul_f64 v[13:14], v[38:39], v[11:12]
	v_cmp_neq_f64_e32 vcc, 0, v[13:14]
	s_and_saveexec_b64 s[60:61], vcc
	s_cbranch_execz .LBB32_79
; %bb.70:                               ;   in Loop: Header=BB32_69 Depth=3
	v_cmp_neq_f64_e32 vcc, 0, v[61:62]
	v_xor_b32_e32 v39, 0x80000000, v14
	v_mov_b32_e32 v38, v13
                                        ; implicit-def: $vgpr40_vgpr41
                                        ; implicit-def: $vgpr32_vgpr33
	s_and_saveexec_b64 s[62:63], vcc
	s_xor_b64 s[62:63], exec, s[62:63]
	s_cbranch_execz .LBB32_76
; %bb.71:                               ;   in Loop: Header=BB32_69 Depth=3
	v_cmp_ngt_f64_e64 s[72:73], |v[13:14]|, |v[61:62]|
                                        ; implicit-def: $vgpr40_vgpr41
                                        ; implicit-def: $vgpr32_vgpr33
	s_and_saveexec_b64 s[76:77], s[72:73]
	s_xor_b64 s[72:73], exec, s[76:77]
	s_cbranch_execz .LBB32_73
; %bb.72:                               ;   in Loop: Header=BB32_69 Depth=3
	v_div_scale_f64 v[21:22], s[76:77], v[61:62], v[61:62], -v[13:14]
	v_mov_b32_e32 v33, 0xffffff80
	v_rcp_f64_e32 v[29:30], v[21:22]
	v_fma_f64 v[31:32], -v[21:22], v[29:30], 1.0
	v_fma_f64 v[29:30], v[29:30], v[31:32], v[29:30]
	v_div_scale_f64 v[31:32], vcc, -v[13:14], v[61:62], -v[13:14]
	v_fma_f64 v[38:39], -v[21:22], v[29:30], 1.0
	v_fma_f64 v[29:30], v[29:30], v[38:39], v[29:30]
	v_mul_f64 v[38:39], v[31:32], v[29:30]
	v_fma_f64 v[21:22], -v[21:22], v[38:39], v[31:32]
	v_mov_b32_e32 v31, 0x100
	v_div_fmas_f64 v[21:22], v[21:22], v[29:30], v[38:39]
	v_div_fixup_f64 v[21:22], v[21:22], v[61:62], -v[13:14]
	v_fma_f64 v[29:30], v[21:22], v[21:22], 1.0
	v_cmp_gt_f64_e32 vcc, s[20:21], v[29:30]
	v_cndmask_b32_e32 v31, 0, v31, vcc
	v_ldexp_f64 v[29:30], v[29:30], v31
	v_cndmask_b32_e32 v33, 0, v33, vcc
	v_rsq_f64_e32 v[31:32], v[29:30]
	v_mul_f64 v[38:39], v[29:30], v[31:32]
	v_mul_f64 v[31:32], v[31:32], 0.5
	v_fma_f64 v[40:41], -v[31:32], v[38:39], 0.5
	v_fma_f64 v[38:39], v[38:39], v[40:41], v[38:39]
	v_fma_f64 v[31:32], v[31:32], v[40:41], v[31:32]
	v_fma_f64 v[40:41], -v[38:39], v[38:39], v[29:30]
	v_fma_f64 v[38:39], v[40:41], v[31:32], v[38:39]
	v_fma_f64 v[40:41], -v[38:39], v[38:39], v[29:30]
	v_fma_f64 v[31:32], v[40:41], v[31:32], v[38:39]
	v_ldexp_f64 v[31:32], v[31:32], v33
	v_mov_b32_e32 v33, 0x260
	v_cmp_class_f64_e32 vcc, v[29:30], v33
	v_cndmask_b32_e32 v30, v32, v30, vcc
	v_cndmask_b32_e32 v29, v31, v29, vcc
	v_div_scale_f64 v[31:32], s[76:77], v[29:30], v[29:30], 1.0
	v_div_scale_f64 v[42:43], vcc, 1.0, v[29:30], 1.0
	v_rcp_f64_e32 v[38:39], v[31:32]
	v_fma_f64 v[40:41], -v[31:32], v[38:39], 1.0
	v_fma_f64 v[38:39], v[38:39], v[40:41], v[38:39]
	v_fma_f64 v[40:41], -v[31:32], v[38:39], 1.0
	v_fma_f64 v[38:39], v[38:39], v[40:41], v[38:39]
	v_mul_f64 v[40:41], v[42:43], v[38:39]
	v_fma_f64 v[31:32], -v[31:32], v[40:41], v[42:43]
	v_div_fmas_f64 v[31:32], v[31:32], v[38:39], v[40:41]
	v_div_fixup_f64 v[32:33], v[31:32], v[29:30], 1.0
	v_mul_f64 v[40:41], v[21:22], v[32:33]
.LBB32_73:                              ;   in Loop: Header=BB32_69 Depth=3
	s_andn2_saveexec_b64 s[72:73], s[72:73]
	s_cbranch_execz .LBB32_75
; %bb.74:                               ;   in Loop: Header=BB32_69 Depth=3
	v_div_scale_f64 v[32:33], s[76:77], v[13:14], v[13:14], -v[61:62]
	v_mov_b32_e32 v21, 0x100
	v_rcp_f64_e32 v[38:39], v[32:33]
	v_fma_f64 v[40:41], -v[32:33], v[38:39], 1.0
	v_fma_f64 v[38:39], v[38:39], v[40:41], v[38:39]
	v_div_scale_f64 v[40:41], vcc, -v[61:62], v[13:14], -v[61:62]
	v_fma_f64 v[42:43], -v[32:33], v[38:39], 1.0
	v_fma_f64 v[38:39], v[38:39], v[42:43], v[38:39]
	v_mul_f64 v[42:43], v[40:41], v[38:39]
	v_fma_f64 v[32:33], -v[32:33], v[42:43], v[40:41]
	v_div_fmas_f64 v[32:33], v[32:33], v[38:39], v[42:43]
	v_div_fixup_f64 v[32:33], v[32:33], v[13:14], -v[61:62]
	v_fma_f64 v[38:39], v[32:33], v[32:33], 1.0
	v_cmp_gt_f64_e32 vcc, s[20:21], v[38:39]
	v_cndmask_b32_e32 v21, 0, v21, vcc
	v_ldexp_f64 v[38:39], v[38:39], v21
	v_mov_b32_e32 v21, 0xffffff80
	v_cndmask_b32_e32 v21, 0, v21, vcc
	v_rsq_f64_e32 v[40:41], v[38:39]
	v_mul_f64 v[42:43], v[38:39], v[40:41]
	v_mul_f64 v[40:41], v[40:41], 0.5
	v_fma_f64 v[29:30], -v[40:41], v[42:43], 0.5
	v_fma_f64 v[42:43], v[42:43], v[29:30], v[42:43]
	v_fma_f64 v[29:30], v[40:41], v[29:30], v[40:41]
	v_fma_f64 v[40:41], -v[42:43], v[42:43], v[38:39]
	v_fma_f64 v[40:41], v[40:41], v[29:30], v[42:43]
	v_fma_f64 v[42:43], -v[40:41], v[40:41], v[38:39]
	v_fma_f64 v[29:30], v[42:43], v[29:30], v[40:41]
	v_ldexp_f64 v[29:30], v[29:30], v21
	v_mov_b32_e32 v21, 0x260
	v_cmp_class_f64_e32 vcc, v[38:39], v21
	v_cndmask_b32_e32 v30, v30, v39, vcc
	v_cndmask_b32_e32 v29, v29, v38, vcc
	v_div_scale_f64 v[38:39], s[76:77], v[29:30], v[29:30], 1.0
	v_div_scale_f64 v[21:22], vcc, 1.0, v[29:30], 1.0
	v_rcp_f64_e32 v[40:41], v[38:39]
	v_fma_f64 v[42:43], -v[38:39], v[40:41], 1.0
	v_fma_f64 v[40:41], v[40:41], v[42:43], v[40:41]
	v_fma_f64 v[42:43], -v[38:39], v[40:41], 1.0
	v_fma_f64 v[40:41], v[40:41], v[42:43], v[40:41]
	v_mul_f64 v[42:43], v[21:22], v[40:41]
	v_fma_f64 v[21:22], -v[38:39], v[42:43], v[21:22]
	v_div_fmas_f64 v[21:22], v[21:22], v[40:41], v[42:43]
	v_div_fixup_f64 v[40:41], v[21:22], v[29:30], 1.0
	v_mul_f64 v[32:33], v[32:33], v[40:41]
.LBB32_75:                              ;   in Loop: Header=BB32_69 Depth=3
	s_or_b64 exec, exec, s[72:73]
	v_mul_f64 v[13:14], v[13:14], v[40:41]
	v_fma_f64 v[38:39], v[61:62], v[32:33], -v[13:14]
.LBB32_76:                              ;   in Loop: Header=BB32_69 Depth=3
	s_andn2_saveexec_b64 s[62:63], s[62:63]
; %bb.77:                               ;   in Loop: Header=BB32_69 Depth=3
	v_mov_b32_e32 v32, 0
	v_mov_b32_e32 v40, 0
	;; [unrolled: 1-line block ×4, first 2 shown]
; %bb.78:                               ;   in Loop: Header=BB32_69 Depth=3
	s_or_b64 exec, exec, s[62:63]
	v_mov_b32_e32 v62, v39
	v_mov_b32_e32 v61, v38
.LBB32_79:                              ;   in Loop: Header=BB32_69 Depth=3
	s_or_b64 exec, exec, s[60:61]
	s_cmp_eq_u32 s74, 0
	s_cbranch_scc1 .LBB32_68
; %bb.80:                               ;   in Loop: Header=BB32_69 Depth=3
	flat_store_dwordx2 v[54:55], v[61:62]
	s_branch .LBB32_68
.LBB32_81:                              ;   in Loop: Header=BB32_47 Depth=2
	v_mov_b32_e32 v7, v60
	s_mov_b64 s[14:15], exec
	v_mov_b32_e32 v8, v61
                                        ; implicit-def: $vgpr14
	s_or_saveexec_b64 s[44:45], s[44:45]
	v_mov_b32_e32 v28, v60
	s_xor_b64 exec, exec, s[44:45]
	s_cbranch_execz .LBB32_52
.LBB32_82:                              ;   in Loop: Header=BB32_47 Depth=2
	buffer_store_dword v60, off, s[0:3], s32 offset:152 ; 4-byte Folded Spill
	s_nop 0
	buffer_store_dword v61, off, s[0:3], s32 offset:156 ; 4-byte Folded Spill
                                        ; implicit-def: $sgpr56_sgpr57
                                        ; implicit-def: $sgpr60_sgpr61
                                        ; implicit-def: $sgpr58_sgpr59
	v_lshlrev_b64 v[11:12], 3, v[60:61]
	v_mov_b32_e32 v17, v60
	v_add_co_u32_e32 v7, vcc, v23, v11
	v_addc_co_u32_e32 v8, vcc, v4, v12, vcc
	v_add_co_u32_e32 v11, vcc, v5, v11
	v_addc_co_u32_e32 v12, vcc, v6, v12, vcc
	s_branch .LBB32_84
.LBB32_83:                              ;   in Loop: Header=BB32_84 Depth=3
	s_or_b64 exec, exec, s[62:63]
	s_xor_b64 s[62:63], s[58:59], -1
	s_and_b64 s[72:73], exec, s[60:61]
	s_or_b64 s[46:47], s[72:73], s[46:47]
	s_andn2_b64 s[56:57], s[56:57], exec
	s_and_b64 s[62:63], s[62:63], exec
	s_or_b64 s[56:57], s[56:57], s[62:63]
	s_andn2_b64 exec, exec, s[46:47]
	s_cbranch_execz .LBB32_86
.LBB32_84:                              ;   Parent Loop BB32_8 Depth=1
                                        ;     Parent Loop BB32_47 Depth=2
                                        ; =>    This Inner Loop Header: Depth=3
	flat_load_dwordx4 v[26:29], v[7:8]
	v_mov_b32_e32 v57, v12
	v_mov_b32_e32 v56, v11
	flat_load_dwordx2 v[11:12], v[11:12]
	v_mov_b32_e32 v16, v17
	s_or_b64 s[58:59], s[58:59], exec
	s_or_b64 s[60:61], s[60:61], exec
                                        ; implicit-def: $vgpr17
	s_waitcnt vmcnt(0) lgkmcnt(0)
	v_mul_f64 v[18:19], v[26:27], v[28:29]
	v_mul_f64 v[11:12], v[11:12], v[11:12]
	v_mul_f64 v[18:19], v[34:35], |v[18:19]|
	v_cmp_nle_f64_e64 s[72:73], |v[11:12]|, v[18:19]
                                        ; implicit-def: $vgpr11_vgpr12
	s_and_saveexec_b64 s[62:63], s[72:73]
	s_cbranch_execz .LBB32_83
; %bb.85:                               ;   in Loop: Header=BB32_84 Depth=3
	v_add_co_u32_e32 v7, vcc, 8, v7
	v_addc_co_u32_e32 v8, vcc, 0, v8, vcc
	v_add_co_u32_e32 v11, vcc, 8, v56
	v_add_u32_e32 v17, 1, v16
	v_addc_co_u32_e32 v12, vcc, 0, v57, vcc
	v_cmp_ge_i32_e32 vcc, v17, v14
	s_andn2_b64 s[60:61], s[60:61], exec
	s_and_b64 s[72:73], vcc, exec
	s_andn2_b64 s[58:59], s[58:59], exec
	s_or_b64 s[60:61], s[60:61], s[72:73]
	s_branch .LBB32_83
.LBB32_86:                              ;   in Loop: Header=BB32_47 Depth=2
	s_or_b64 exec, exec, s[46:47]
	buffer_load_dword v7, off, s[0:3], s32 offset:152 ; 4-byte Folded Reload
	buffer_load_dword v8, off, s[0:3], s32 offset:156 ; 4-byte Folded Reload
	s_andn2_b64 s[14:15], s[14:15], exec
	s_and_b64 s[46:47], s[56:57], exec
	s_or_b64 s[14:15], s[14:15], s[46:47]
	s_mov_b64 s[46:47], exec
	v_mov_b32_e32 v28, v14
	s_or_b64 exec, exec, s[44:45]
                                        ; implicit-def: $vgpr50
	s_and_saveexec_b64 s[44:45], s[14:15]
	s_cbranch_execz .LBB32_53
.LBB32_87:                              ;   in Loop: Header=BB32_47 Depth=2
	buffer_load_dword v11, off, s[0:3], s32 offset:64 ; 4-byte Folded Reload
	buffer_load_dword v12, off, s[0:3], s32 offset:68 ; 4-byte Folded Reload
	s_andn2_b64 s[46:47], s[46:47], exec
	s_waitcnt vmcnt(0)
	global_load_dword v50, v[11:12], off offset:4
	s_nop 0
	global_load_dword v11, v[11:12], off offset:16
	s_waitcnt vmcnt(1)
	ds_write_b32 v50, v28
	s_waitcnt vmcnt(0)
	ds_write_b32 v11, v60
	s_or_b64 exec, exec, s[44:45]
	s_and_saveexec_b64 s[14:15], s[46:47]
	s_cbranch_execnz .LBB32_54
	s_branch .LBB32_55
.LBB32_88:                              ;   in Loop: Header=BB32_47 Depth=2
	s_or_b64 exec, exec, s[58:59]
.LBB32_89:                              ;   in Loop: Header=BB32_47 Depth=2
	s_or_b64 exec, exec, s[56:57]
	ds_read_b64 v[11:12], v58
.LBB32_90:                              ;   in Loop: Header=BB32_47 Depth=2
	s_or_b64 exec, exec, s[14:15]
	flat_load_dwordx2 v[7:8], v[26:27]
                                        ; implicit-def: $vgpr60
                                        ; implicit-def: $vgpr32_vgpr33
	s_waitcnt vmcnt(0) lgkmcnt(0)
	v_add_f64 v[7:8], v[7:8], -v[11:12]
	flat_store_dwordx2 v[26:27], v[7:8]
	buffer_load_dword v7, off, s[0:3], s32 offset:216 ; 4-byte Folded Reload
	s_nop 0
	buffer_load_dword v8, off, s[0:3], s32 offset:220 ; 4-byte Folded Reload
                                        ; implicit-def: $vgpr26_vgpr27
	s_waitcnt vmcnt(0)
	flat_store_dwordx2 v[7:8], v[61:62]
                                        ; implicit-def: $vgpr61_vgpr62
.LBB32_91:                              ;   in Loop: Header=BB32_47 Depth=2
	s_andn2_saveexec_b64 s[46:47], s[46:47]
	s_cbranch_execz .LBB32_126
; %bb.92:                               ;   in Loop: Header=BB32_47 Depth=2
	v_add_co_u32_e32 v54, vcc, v5, v61
	v_addc_co_u32_e32 v55, vcc, v6, v62, vcc
	flat_load_dwordx2 v[11:12], v[26:27] offset:8
	flat_load_dwordx2 v[17:18], v[54:55]
                                        ; implicit-def: $vgpr19_vgpr20
	s_waitcnt vmcnt(0) lgkmcnt(0)
	v_add_f64 v[7:8], v[32:33], -v[11:12]
	v_add_f64 v[51:52], v[17:18], v[17:18]
	v_cmp_ngt_f64_e64 s[14:15], |v[7:8]|, |v[51:52]|
	s_and_saveexec_b64 s[56:57], s[14:15]
	s_xor_b64 s[14:15], exec, s[56:57]
	s_cbranch_execz .LBB32_98
; %bb.93:                               ;   in Loop: Header=BB32_47 Depth=2
	v_cmp_nlt_f64_e64 s[56:57], |v[7:8]|, |v[51:52]|
                                        ; implicit-def: $vgpr19_vgpr20
	s_and_saveexec_b64 s[58:59], s[56:57]
	s_xor_b64 s[56:57], exec, s[58:59]
; %bb.94:                               ;   in Loop: Header=BB32_47 Depth=2
	v_mul_f64 v[19:20], |v[51:52]|, s[22:23]
; %bb.95:                               ;   in Loop: Header=BB32_47 Depth=2
	s_andn2_saveexec_b64 s[56:57], s[56:57]
	s_cbranch_execz .LBB32_97
; %bb.96:                               ;   in Loop: Header=BB32_47 Depth=2
	v_and_b32_e32 v14, 0x7fffffff, v8
	v_mov_b32_e32 v13, v7
	v_and_b32_e32 v20, 0x7fffffff, v52
	v_mov_b32_e32 v19, v51
	v_div_scale_f64 v[28:29], s[58:59], v[19:20], v[19:20], v[13:14]
	v_div_scale_f64 v[13:14], vcc, v[13:14], v[19:20], v[13:14]
	v_mov_b32_e32 v21, 0xffffff80
	v_rcp_f64_e32 v[30:31], v[28:29]
	v_fma_f64 v[38:39], -v[28:29], v[30:31], 1.0
	v_fma_f64 v[30:31], v[30:31], v[38:39], v[30:31]
	v_fma_f64 v[19:20], -v[28:29], v[30:31], 1.0
	v_fma_f64 v[19:20], v[30:31], v[19:20], v[30:31]
	v_mul_f64 v[30:31], v[13:14], v[19:20]
	v_fma_f64 v[13:14], -v[28:29], v[30:31], v[13:14]
	v_div_fmas_f64 v[13:14], v[13:14], v[19:20], v[30:31]
	v_mov_b32_e32 v19, 0x100
	v_div_fixup_f64 v[13:14], v[13:14], |v[51:52]|, |v[7:8]|
	v_fma_f64 v[13:14], v[13:14], v[13:14], 1.0
	v_cmp_gt_f64_e32 vcc, s[20:21], v[13:14]
	v_cndmask_b32_e32 v19, 0, v19, vcc
	v_ldexp_f64 v[13:14], v[13:14], v19
	v_cndmask_b32_e32 v21, 0, v21, vcc
	v_rsq_f64_e32 v[19:20], v[13:14]
	v_mul_f64 v[28:29], v[13:14], v[19:20]
	v_mul_f64 v[19:20], v[19:20], 0.5
	v_fma_f64 v[30:31], -v[19:20], v[28:29], 0.5
	v_fma_f64 v[28:29], v[28:29], v[30:31], v[28:29]
	v_fma_f64 v[19:20], v[19:20], v[30:31], v[19:20]
	v_fma_f64 v[30:31], -v[28:29], v[28:29], v[13:14]
	v_fma_f64 v[28:29], v[30:31], v[19:20], v[28:29]
	v_fma_f64 v[30:31], -v[28:29], v[28:29], v[13:14]
	v_fma_f64 v[19:20], v[30:31], v[19:20], v[28:29]
	v_ldexp_f64 v[19:20], v[19:20], v21
	v_mov_b32_e32 v21, 0x260
	v_cmp_class_f64_e32 vcc, v[13:14], v21
	v_cndmask_b32_e32 v14, v20, v14, vcc
	v_cndmask_b32_e32 v13, v19, v13, vcc
	v_mul_f64 v[19:20], |v[51:52]|, v[13:14]
.LBB32_97:                              ;   in Loop: Header=BB32_47 Depth=2
	s_or_b64 exec, exec, s[56:57]
.LBB32_98:                              ;   in Loop: Header=BB32_47 Depth=2
	s_andn2_saveexec_b64 s[14:15], s[14:15]
	s_cbranch_execz .LBB32_100
; %bb.99:                               ;   in Loop: Header=BB32_47 Depth=2
	v_and_b32_e32 v14, 0x7fffffff, v52
	v_mov_b32_e32 v13, v51
	v_and_b32_e32 v20, 0x7fffffff, v8
	v_mov_b32_e32 v19, v7
	v_div_scale_f64 v[28:29], s[56:57], v[19:20], v[19:20], v[13:14]
	v_div_scale_f64 v[13:14], vcc, v[13:14], v[19:20], v[13:14]
	v_mov_b32_e32 v21, 0xffffff80
	v_rcp_f64_e32 v[30:31], v[28:29]
	v_fma_f64 v[38:39], -v[28:29], v[30:31], 1.0
	v_fma_f64 v[30:31], v[30:31], v[38:39], v[30:31]
	v_fma_f64 v[19:20], -v[28:29], v[30:31], 1.0
	v_fma_f64 v[19:20], v[30:31], v[19:20], v[30:31]
	v_mul_f64 v[30:31], v[13:14], v[19:20]
	v_fma_f64 v[13:14], -v[28:29], v[30:31], v[13:14]
	v_div_fmas_f64 v[13:14], v[13:14], v[19:20], v[30:31]
	v_mov_b32_e32 v19, 0x100
	v_div_fixup_f64 v[13:14], v[13:14], |v[7:8]|, |v[51:52]|
	v_fma_f64 v[13:14], v[13:14], v[13:14], 1.0
	v_cmp_gt_f64_e32 vcc, s[20:21], v[13:14]
	v_cndmask_b32_e32 v19, 0, v19, vcc
	v_ldexp_f64 v[13:14], v[13:14], v19
	v_cndmask_b32_e32 v21, 0, v21, vcc
	v_rsq_f64_e32 v[19:20], v[13:14]
	v_mul_f64 v[28:29], v[13:14], v[19:20]
	v_mul_f64 v[19:20], v[19:20], 0.5
	v_fma_f64 v[30:31], -v[19:20], v[28:29], 0.5
	v_fma_f64 v[28:29], v[28:29], v[30:31], v[28:29]
	v_fma_f64 v[19:20], v[19:20], v[30:31], v[19:20]
	v_fma_f64 v[30:31], -v[28:29], v[28:29], v[13:14]
	v_fma_f64 v[28:29], v[30:31], v[19:20], v[28:29]
	v_fma_f64 v[30:31], -v[28:29], v[28:29], v[13:14]
	v_fma_f64 v[19:20], v[30:31], v[19:20], v[28:29]
	v_ldexp_f64 v[19:20], v[19:20], v21
	v_mov_b32_e32 v21, 0x260
	v_cmp_class_f64_e32 vcc, v[13:14], v21
	v_cndmask_b32_e32 v14, v20, v14, vcc
	v_cndmask_b32_e32 v13, v19, v13, vcc
	v_mul_f64 v[19:20], |v[7:8]|, v[13:14]
.LBB32_100:                             ;   in Loop: Header=BB32_47 Depth=2
	s_or_b64 exec, exec, s[14:15]
	v_add_f64 v[38:39], v[32:33], v[11:12]
	v_cmp_gt_f64_e64 vcc, |v[32:33]|, |v[11:12]|
                                        ; implicit-def: $vgpr30_vgpr31
	v_cndmask_b32_e32 v41, v33, v12, vcc
	v_cndmask_b32_e32 v40, v32, v11, vcc
	v_cndmask_b32_e32 v12, v12, v33, vcc
	v_cndmask_b32_e32 v11, v11, v32, vcc
	v_cmp_ngt_f64_e32 vcc, 0, v[38:39]
	s_and_saveexec_b64 s[14:15], vcc
	s_xor_b64 s[14:15], exec, s[14:15]
	s_cbranch_execz .LBB32_106
; %bb.101:                              ;   in Loop: Header=BB32_47 Depth=2
	v_cmp_nlt_f64_e32 vcc, 0, v[38:39]
                                        ; implicit-def: $vgpr30_vgpr31
	s_and_saveexec_b64 s[56:57], vcc
	s_xor_b64 s[56:57], exec, s[56:57]
	s_cbranch_execz .LBB32_103
; %bb.102:                              ;   in Loop: Header=BB32_47 Depth=2
	v_mul_f64 v[28:29], v[19:20], 0.5
	v_mul_f64 v[30:31], v[19:20], -0.5
                                        ; implicit-def: $vgpr38_vgpr39
                                        ; implicit-def: $vgpr11_vgpr12
                                        ; implicit-def: $vgpr17_vgpr18
                                        ; implicit-def: $vgpr40_vgpr41
.LBB32_103:                             ;   in Loop: Header=BB32_47 Depth=2
	s_andn2_saveexec_b64 s[56:57], s[56:57]
	s_cbranch_execz .LBB32_105
; %bb.104:                              ;   in Loop: Header=BB32_47 Depth=2
	v_add_f64 v[13:14], v[38:39], v[19:20]
	v_mul_f64 v[28:29], v[13:14], 0.5
	v_div_scale_f64 v[13:14], s[58:59], v[28:29], v[28:29], v[11:12]
	v_rcp_f64_e32 v[30:31], v[13:14]
	v_fma_f64 v[32:33], -v[13:14], v[30:31], 1.0
	v_fma_f64 v[30:31], v[30:31], v[32:33], v[30:31]
	v_fma_f64 v[32:33], -v[13:14], v[30:31], 1.0
	v_fma_f64 v[30:31], v[30:31], v[32:33], v[30:31]
	v_div_scale_f64 v[32:33], vcc, v[11:12], v[28:29], v[11:12]
	v_mul_f64 v[38:39], v[32:33], v[30:31]
	v_fma_f64 v[13:14], -v[13:14], v[38:39], v[32:33]
	s_nop 1
	v_div_fmas_f64 v[13:14], v[13:14], v[30:31], v[38:39]
	v_div_fixup_f64 v[11:12], v[13:14], v[28:29], v[11:12]
	v_div_scale_f64 v[13:14], s[58:59], v[28:29], v[28:29], v[17:18]
	v_rcp_f64_e32 v[30:31], v[13:14]
	v_fma_f64 v[32:33], -v[13:14], v[30:31], 1.0
	v_fma_f64 v[30:31], v[30:31], v[32:33], v[30:31]
	v_fma_f64 v[32:33], -v[13:14], v[30:31], 1.0
	v_fma_f64 v[30:31], v[30:31], v[32:33], v[30:31]
	v_div_scale_f64 v[32:33], vcc, v[17:18], v[28:29], v[17:18]
	v_mul_f64 v[38:39], v[32:33], v[30:31]
	v_fma_f64 v[13:14], -v[13:14], v[38:39], v[32:33]
	s_nop 1
	v_div_fmas_f64 v[13:14], v[13:14], v[30:31], v[38:39]
	v_div_fixup_f64 v[13:14], v[13:14], v[28:29], v[17:18]
	v_mul_f64 v[13:14], v[17:18], v[13:14]
	v_fma_f64 v[30:31], v[40:41], v[11:12], -v[13:14]
.LBB32_105:                             ;   in Loop: Header=BB32_47 Depth=2
	s_or_b64 exec, exec, s[56:57]
                                        ; implicit-def: $vgpr38_vgpr39
                                        ; implicit-def: $vgpr11_vgpr12
                                        ; implicit-def: $vgpr17_vgpr18
                                        ; implicit-def: $vgpr40_vgpr41
.LBB32_106:                             ;   in Loop: Header=BB32_47 Depth=2
	s_or_saveexec_b64 s[14:15], s[14:15]
	v_mov_b32_e32 v13, 1
	s_xor_b64 exec, exec, s[14:15]
	s_cbranch_execz .LBB32_108
; %bb.107:                              ;   in Loop: Header=BB32_47 Depth=2
	v_add_f64 v[13:14], v[38:39], -v[19:20]
	v_mul_f64 v[28:29], v[13:14], 0.5
	v_div_scale_f64 v[13:14], s[56:57], v[28:29], v[28:29], v[11:12]
	v_rcp_f64_e32 v[30:31], v[13:14]
	v_fma_f64 v[32:33], -v[13:14], v[30:31], 1.0
	v_fma_f64 v[30:31], v[30:31], v[32:33], v[30:31]
	v_fma_f64 v[32:33], -v[13:14], v[30:31], 1.0
	v_fma_f64 v[30:31], v[30:31], v[32:33], v[30:31]
	v_div_scale_f64 v[32:33], vcc, v[11:12], v[28:29], v[11:12]
	v_mul_f64 v[38:39], v[32:33], v[30:31]
	v_fma_f64 v[13:14], -v[13:14], v[38:39], v[32:33]
	s_nop 1
	v_div_fmas_f64 v[13:14], v[13:14], v[30:31], v[38:39]
	v_div_fixup_f64 v[11:12], v[13:14], v[28:29], v[11:12]
	v_div_scale_f64 v[13:14], s[56:57], v[28:29], v[28:29], v[17:18]
	v_rcp_f64_e32 v[30:31], v[13:14]
	v_fma_f64 v[32:33], -v[13:14], v[30:31], 1.0
	v_fma_f64 v[30:31], v[30:31], v[32:33], v[30:31]
	v_fma_f64 v[32:33], -v[13:14], v[30:31], 1.0
	v_fma_f64 v[30:31], v[30:31], v[32:33], v[30:31]
	v_div_scale_f64 v[32:33], vcc, v[17:18], v[28:29], v[17:18]
	v_mul_f64 v[38:39], v[32:33], v[30:31]
	v_fma_f64 v[13:14], -v[13:14], v[38:39], v[32:33]
	s_nop 1
	v_div_fmas_f64 v[13:14], v[13:14], v[30:31], v[38:39]
	v_div_fixup_f64 v[13:14], v[13:14], v[28:29], v[17:18]
	v_mul_f64 v[13:14], v[17:18], v[13:14]
	v_fma_f64 v[30:31], v[40:41], v[11:12], -v[13:14]
	v_mov_b32_e32 v13, -1
.LBB32_108:                             ;   in Loop: Header=BB32_47 Depth=2
	s_or_b64 exec, exec, s[14:15]
	v_cmp_nle_f64_e64 s[14:15], 0, v[7:8]
	v_xor_b32_e32 v11, 0x80000000, v20
                                        ; implicit-def: $vgpr17_vgpr18
	v_cndmask_b32_e64 v20, v20, v11, s[14:15]
	v_add_f64 v[7:8], v[7:8], v[19:20]
                                        ; implicit-def: $vgpr11_vgpr12
	v_cmp_ngt_f64_e64 s[56:57], |v[7:8]|, |v[51:52]|
	s_and_saveexec_b64 s[58:59], s[56:57]
	s_xor_b64 s[56:57], exec, s[58:59]
	s_cbranch_execz .LBB32_112
; %bb.109:                              ;   in Loop: Header=BB32_47 Depth=2
	v_cmp_neq_f64_e32 vcc, 0, v[51:52]
	v_mov_b32_e32 v11, 0
	v_mov_b32_e32 v17, 0
	;; [unrolled: 1-line block ×4, first 2 shown]
	s_and_saveexec_b64 s[58:59], vcc
	s_cbranch_execz .LBB32_111
; %bb.110:                              ;   in Loop: Header=BB32_47 Depth=2
	v_div_scale_f64 v[11:12], s[60:61], v[51:52], v[51:52], -v[7:8]
	v_mov_b32_e32 v14, 0x100
	v_rcp_f64_e32 v[17:18], v[11:12]
	v_fma_f64 v[19:20], -v[11:12], v[17:18], 1.0
	v_fma_f64 v[17:18], v[17:18], v[19:20], v[17:18]
	v_div_scale_f64 v[19:20], vcc, -v[7:8], v[51:52], -v[7:8]
	v_fma_f64 v[32:33], -v[11:12], v[17:18], 1.0
	v_fma_f64 v[17:18], v[17:18], v[32:33], v[17:18]
	v_mul_f64 v[32:33], v[19:20], v[17:18]
	v_fma_f64 v[11:12], -v[11:12], v[32:33], v[19:20]
	v_div_fmas_f64 v[11:12], v[11:12], v[17:18], v[32:33]
	v_div_fixup_f64 v[7:8], v[11:12], v[51:52], -v[7:8]
	v_fma_f64 v[11:12], v[7:8], v[7:8], 1.0
	v_cmp_gt_f64_e32 vcc, s[20:21], v[11:12]
	v_cndmask_b32_e32 v14, 0, v14, vcc
	v_ldexp_f64 v[11:12], v[11:12], v14
	v_mov_b32_e32 v14, 0xffffff80
	v_cndmask_b32_e32 v14, 0, v14, vcc
	v_rsq_f64_e32 v[17:18], v[11:12]
	v_mul_f64 v[19:20], v[11:12], v[17:18]
	v_mul_f64 v[17:18], v[17:18], 0.5
	v_fma_f64 v[32:33], -v[17:18], v[19:20], 0.5
	v_fma_f64 v[19:20], v[19:20], v[32:33], v[19:20]
	v_fma_f64 v[17:18], v[17:18], v[32:33], v[17:18]
	v_fma_f64 v[32:33], -v[19:20], v[19:20], v[11:12]
	v_fma_f64 v[19:20], v[32:33], v[17:18], v[19:20]
	v_fma_f64 v[32:33], -v[19:20], v[19:20], v[11:12]
	v_fma_f64 v[17:18], v[32:33], v[17:18], v[19:20]
	v_ldexp_f64 v[17:18], v[17:18], v14
	v_mov_b32_e32 v14, 0x260
	v_cmp_class_f64_e32 vcc, v[11:12], v14
	v_cndmask_b32_e32 v12, v18, v12, vcc
	v_cndmask_b32_e32 v11, v17, v11, vcc
	v_div_scale_f64 v[17:18], s[60:61], v[11:12], v[11:12], 1.0
	v_div_scale_f64 v[38:39], vcc, 1.0, v[11:12], 1.0
	v_rcp_f64_e32 v[19:20], v[17:18]
	v_fma_f64 v[32:33], -v[17:18], v[19:20], 1.0
	v_fma_f64 v[19:20], v[19:20], v[32:33], v[19:20]
	v_fma_f64 v[32:33], -v[17:18], v[19:20], 1.0
	v_fma_f64 v[19:20], v[19:20], v[32:33], v[19:20]
	v_mul_f64 v[32:33], v[38:39], v[19:20]
	v_fma_f64 v[17:18], -v[17:18], v[32:33], v[38:39]
	v_div_fmas_f64 v[17:18], v[17:18], v[19:20], v[32:33]
	v_div_fixup_f64 v[17:18], v[17:18], v[11:12], 1.0
	v_mul_f64 v[11:12], v[7:8], v[17:18]
.LBB32_111:                             ;   in Loop: Header=BB32_47 Depth=2
	s_or_b64 exec, exec, s[58:59]
                                        ; implicit-def: $vgpr7_vgpr8
                                        ; implicit-def: $vgpr51_vgpr52
.LBB32_112:                             ;   in Loop: Header=BB32_47 Depth=2
	s_andn2_saveexec_b64 s[56:57], s[56:57]
	s_cbranch_execz .LBB32_114
; %bb.113:                              ;   in Loop: Header=BB32_47 Depth=2
	v_div_scale_f64 v[11:12], s[58:59], v[7:8], v[7:8], -v[51:52]
	v_mov_b32_e32 v14, 0x100
	v_rcp_f64_e32 v[17:18], v[11:12]
	v_fma_f64 v[19:20], -v[11:12], v[17:18], 1.0
	v_fma_f64 v[17:18], v[17:18], v[19:20], v[17:18]
	v_div_scale_f64 v[19:20], vcc, -v[51:52], v[7:8], -v[51:52]
	v_fma_f64 v[32:33], -v[11:12], v[17:18], 1.0
	v_fma_f64 v[17:18], v[17:18], v[32:33], v[17:18]
	v_mul_f64 v[32:33], v[19:20], v[17:18]
	v_fma_f64 v[11:12], -v[11:12], v[32:33], v[19:20]
	v_div_fmas_f64 v[11:12], v[11:12], v[17:18], v[32:33]
	v_div_fixup_f64 v[7:8], v[11:12], v[7:8], -v[51:52]
	v_fma_f64 v[11:12], v[7:8], v[7:8], 1.0
	v_cmp_gt_f64_e32 vcc, s[20:21], v[11:12]
	v_cndmask_b32_e32 v14, 0, v14, vcc
	v_ldexp_f64 v[11:12], v[11:12], v14
	v_mov_b32_e32 v14, 0xffffff80
	v_cndmask_b32_e32 v14, 0, v14, vcc
	v_rsq_f64_e32 v[17:18], v[11:12]
	v_mul_f64 v[19:20], v[11:12], v[17:18]
	v_mul_f64 v[17:18], v[17:18], 0.5
	v_fma_f64 v[32:33], -v[17:18], v[19:20], 0.5
	v_fma_f64 v[19:20], v[19:20], v[32:33], v[19:20]
	v_fma_f64 v[17:18], v[17:18], v[32:33], v[17:18]
	v_fma_f64 v[32:33], -v[19:20], v[19:20], v[11:12]
	v_fma_f64 v[19:20], v[32:33], v[17:18], v[19:20]
	v_fma_f64 v[32:33], -v[19:20], v[19:20], v[11:12]
	v_fma_f64 v[17:18], v[32:33], v[17:18], v[19:20]
	v_ldexp_f64 v[17:18], v[17:18], v14
	v_mov_b32_e32 v14, 0x260
	v_cmp_class_f64_e32 vcc, v[11:12], v14
	v_cndmask_b32_e32 v12, v18, v12, vcc
	v_cndmask_b32_e32 v11, v17, v11, vcc
	v_div_scale_f64 v[17:18], s[58:59], v[11:12], v[11:12], 1.0
	v_div_scale_f64 v[38:39], vcc, 1.0, v[11:12], 1.0
	v_rcp_f64_e32 v[19:20], v[17:18]
	v_fma_f64 v[32:33], -v[17:18], v[19:20], 1.0
	v_fma_f64 v[19:20], v[19:20], v[32:33], v[19:20]
	v_fma_f64 v[32:33], -v[17:18], v[19:20], 1.0
	v_fma_f64 v[19:20], v[19:20], v[32:33], v[19:20]
	v_mul_f64 v[32:33], v[38:39], v[19:20]
	v_fma_f64 v[17:18], -v[17:18], v[32:33], v[38:39]
	v_div_fmas_f64 v[17:18], v[17:18], v[19:20], v[32:33]
	v_div_fixup_f64 v[11:12], v[17:18], v[11:12], 1.0
	v_mul_f64 v[17:18], v[7:8], v[11:12]
.LBB32_114:                             ;   in Loop: Header=BB32_47 Depth=2
	s_or_b64 exec, exec, s[56:57]
	v_cndmask_b32_e64 v7, 1, -1, s[14:15]
	v_xor_b32_e32 v14, 0x80000000, v12
	v_cmp_eq_u32_e32 vcc, v13, v7
	buffer_load_dword v13, off, s[0:3], s32 offset:140 ; 4-byte Folded Reload
	v_cndmask_b32_e32 v8, v12, v18, vcc
	v_cndmask_b32_e32 v12, v18, v14, vcc
	buffer_load_dword v14, off, s[0:3], s32 offset:136 ; 4-byte Folded Reload
	v_cndmask_b32_e32 v7, v11, v17, vcc
	v_cndmask_b32_e32 v11, v17, v11, vcc
	s_waitcnt vmcnt(1)
	v_add_co_u32_e32 v13, vcc, v13, v61
	s_waitcnt vmcnt(0)
	v_addc_co_u32_e32 v14, vcc, v14, v62, vcc
	flat_store_dwordx2 v[13:14], v[11:12]
	buffer_load_dword v11, off, s[0:3], s32 offset:104 ; 4-byte Folded Reload
	s_nop 0
	buffer_load_dword v12, off, s[0:3], s32 offset:108 ; 4-byte Folded Reload
	s_waitcnt vmcnt(0)
	v_add_co_u32_e32 v11, vcc, v13, v11
	v_addc_co_u32_e32 v12, vcc, v14, v12, vcc
	flat_store_dwordx2 v[11:12], v[7:8]
	flat_store_dwordx4 v[26:27], v[28:31]
	buffer_load_dword v7, off, s[0:3], s32 offset:92 ; 4-byte Folded Reload
	s_nop 0
	buffer_load_dword v8, off, s[0:3], s32 offset:96 ; 4-byte Folded Reload
	s_waitcnt vmcnt(0)
	v_mov_b32_e32 v11, v7
	v_mov_b32_e32 v12, v7
	buffer_store_dword v7, off, s[0:3], s32 offset:92 ; 4-byte Folded Spill
	s_nop 0
	buffer_store_dword v8, off, s[0:3], s32 offset:96 ; 4-byte Folded Spill
	v_add_u32_e32 v7, 2, v60
	flat_store_dwordx2 v[54:55], v[11:12]
	ds_write_b32 v1, v7
	s_or_b64 exec, exec, s[46:47]
                                        ; implicit-def: $vgpr26_vgpr27
                                        ; implicit-def: $vgpr32_vgpr33
                                        ; implicit-def: $vgpr7
.LBB32_115:                             ;   in Loop: Header=BB32_47 Depth=2
	s_andn2_saveexec_b64 s[14:15], s[44:45]
	s_cbranch_execz .LBB32_117
.LBB32_116:                             ;   in Loop: Header=BB32_47 Depth=2
	flat_store_dwordx2 v[26:27], v[32:33]
	ds_write_b32 v1, v7
.LBB32_117:                             ;   in Loop: Header=BB32_47 Depth=2
	s_or_b64 exec, exec, s[14:15]
.LBB32_118:                             ;   in Loop: Header=BB32_47 Depth=2
	s_or_b64 exec, exec, s[42:43]
	s_waitcnt vmcnt(0) lgkmcnt(0)
	s_barrier
	ds_read_b32 v60, v50
	ds_read_b32 v7, v1
	s_waitcnt lgkmcnt(0)
	v_cmp_ne_u32_e32 vcc, v60, v7
	s_and_saveexec_b64 s[42:43], vcc
	s_cbranch_execz .LBB32_46
; %bb.119:                              ;   in Loop: Header=BB32_47 Depth=2
	s_and_saveexec_b64 s[44:45], s[10:11]
	s_cbranch_execz .LBB32_45
; %bb.120:                              ;   in Loop: Header=BB32_47 Depth=2
	buffer_load_dword v7, off, s[0:3], s32 offset:64 ; 4-byte Folded Reload
	buffer_load_dword v8, off, s[0:3], s32 offset:68 ; 4-byte Folded Reload
	s_mov_b64 s[46:47], 0
	s_waitcnt vmcnt(0)
	global_load_dword v7, v[7:8], off offset:16
	s_waitcnt vmcnt(0)
	ds_read_b32 v7, v7
	buffer_load_dword v11, off, s[0:3], s32 offset:92 ; 4-byte Folded Reload
	buffer_load_dword v12, off, s[0:3], s32 offset:96 ; 4-byte Folded Reload
	s_waitcnt lgkmcnt(0)
	v_sub_u32_e32 v13, v60, v7
	v_ashrrev_i32_e32 v8, 31, v7
	v_mul_lo_u32 v17, v7, v9
	v_lshlrev_b64 v[7:8], 3, v[7:8]
	v_mad_i64_i32 v[19:20], s[14:15], v13, v9, 0
	v_ashrrev_i32_e32 v18, 31, v17
	v_lshlrev_b64 v[17:18], 3, v[17:18]
	v_cmp_lt_i32_e32 vcc, 0, v13
	s_waitcnt vmcnt(0)
	v_mov_b32_e32 v12, v11
	v_add_u32_e32 v11, -1, v13
	v_lshlrev_b64 v[21:22], 3, v[11:12]
	buffer_load_dword v12, off, s[0:3], s32 offset:140 ; 4-byte Folded Reload
	v_add_co_u32_e64 v7, s[14:15], v7, v21
	v_addc_co_u32_e64 v8, s[14:15], v8, v22, s[14:15]
	v_lshlrev_b64 v[21:22], 3, v[19:20]
	s_waitcnt vmcnt(0)
	v_add_co_u32_e64 v7, s[14:15], v12, v7
	buffer_load_dword v12, off, s[0:3], s32 offset:136 ; 4-byte Folded Reload
	s_waitcnt vmcnt(0)
	v_addc_co_u32_e64 v8, s[14:15], v12, v8, s[14:15]
	buffer_load_dword v12, off, s[0:3], s32 offset:164 ; 4-byte Folded Reload
	s_waitcnt vmcnt(0)
	v_add_co_u32_e64 v14, s[14:15], v12, v17
	buffer_load_dword v12, off, s[0:3], s32 offset:160 ; 4-byte Folded Reload
	s_waitcnt vmcnt(0)
	v_addc_co_u32_e64 v20, s[14:15], v12, v18, s[14:15]
	v_mad_u64_u32 v[17:18], s[14:15], v48, v11, v[17:18]
	v_add_co_u32_e64 v32, s[14:15], v14, v21
	v_mov_b32_e32 v12, v18
	v_addc_co_u32_e64 v33, s[14:15], v20, v22, s[14:15]
	v_mad_u64_u32 v[18:19], s[14:15], v49, v11, v[12:13]
	buffer_load_dword v11, off, s[0:3], s32 offset:168 ; 4-byte Folded Reload
	buffer_load_dword v12, off, s[0:3], s32 offset:172 ; 4-byte Folded Reload
	s_waitcnt vmcnt(1)
	v_add_co_u32_e64 v11, s[14:15], v11, v17
	s_waitcnt vmcnt(0)
	v_addc_co_u32_e64 v12, s[14:15], v12, v18, s[14:15]
	buffer_load_dword v17, off, s[0:3], s32 offset:128 ; 4-byte Folded Reload
	buffer_load_dword v18, off, s[0:3], s32 offset:132 ; 4-byte Folded Reload
	s_branch .LBB32_122
.LBB32_121:                             ;   in Loop: Header=BB32_122 Depth=3
	s_or_b64 exec, exec, s[56:57]
	v_add_u32_e32 v17, v17, v24
	v_cmp_ge_i32_e64 s[14:15], v17, v2
	s_or_b64 s[46:47], s[14:15], s[46:47]
	v_add_co_u32_e64 v11, s[14:15], v11, v36
	v_addc_co_u32_e64 v12, s[14:15], v12, v37, s[14:15]
	s_waitcnt vmcnt(0) lgkmcnt(0)
	flat_store_dwordx2 v[26:27], v[18:19]
	s_andn2_b64 exec, exec, s[46:47]
	s_cbranch_execz .LBB32_45
.LBB32_122:                             ;   Parent Loop BB32_8 Depth=1
                                        ;     Parent Loop BB32_47 Depth=2
                                        ; =>    This Loop Header: Depth=3
                                        ;         Child Loop BB32_124 Depth 4
	s_waitcnt vmcnt(0)
	v_ashrrev_i32_e32 v18, 31, v17
	v_lshlrev_b64 v[21:22], 3, v[17:18]
	v_add_co_u32_e64 v18, s[14:15], v32, v21
	v_addc_co_u32_e64 v19, s[14:15], v33, v22, s[14:15]
	flat_load_dwordx2 v[18:19], v[18:19]
	v_add_co_u32_e64 v26, s[14:15], v14, v21
	v_addc_co_u32_e64 v27, s[14:15], v20, v22, s[14:15]
	s_and_saveexec_b64 s[56:57], vcc
	s_cbranch_execz .LBB32_121
; %bb.123:                              ;   in Loop: Header=BB32_122 Depth=3
	v_mov_b32_e32 v29, v8
	v_mov_b32_e32 v31, v12
	s_mov_b64 s[58:59], 0
	v_mov_b32_e32 v28, v7
	v_mov_b32_e32 v30, v11
	;; [unrolled: 1-line block ×3, first 2 shown]
.LBB32_124:                             ;   Parent Loop BB32_8 Depth=1
                                        ;     Parent Loop BB32_47 Depth=2
                                        ;       Parent Loop BB32_122 Depth=3
                                        ; =>      This Inner Loop Header: Depth=4
	v_add_co_u32_e64 v21, s[14:15], v28, v3
	v_addc_co_u32_e64 v22, s[14:15], v29, v15, s[14:15]
	flat_load_dwordx2 v[50:51], v[30:31]
	flat_load_dwordx2 v[54:55], v[28:29]
	s_nop 0
	flat_load_dwordx2 v[21:22], v[21:22]
	v_mad_u64_u32 v[39:40], s[14:15], v38, v9, 0
	v_add_co_u32_e64 v30, s[14:15], v30, v53
	v_addc_co_u32_e64 v31, s[14:15], v31, v63, s[14:15]
	v_add_co_u32_e64 v28, s[14:15], -8, v28
	v_add_u32_e32 v43, -1, v38
	v_addc_co_u32_e64 v29, s[14:15], -1, v29, s[14:15]
	v_cmp_eq_u32_e64 s[14:15], 0, v43
	v_mov_b32_e32 v52, v40
	s_or_b64 s[58:59], s[14:15], s[58:59]
	v_mad_u64_u32 v[58:59], s[14:15], v38, v10, v[52:53]
	v_mov_b32_e32 v38, v43
	v_mov_b32_e32 v40, v58
	s_waitcnt vmcnt(0) lgkmcnt(0)
	v_mul_f64 v[41:42], v[21:22], v[50:51]
	v_mul_f64 v[50:51], v[54:55], v[50:51]
	v_fma_f64 v[54:55], v[18:19], v[54:55], -v[41:42]
	v_fma_f64 v[18:19], v[18:19], v[21:22], v[50:51]
	v_lshlrev_b64 v[21:22], 3, v[39:40]
	v_add_co_u32_e64 v21, s[14:15], v26, v21
	v_addc_co_u32_e64 v22, s[14:15], v27, v22, s[14:15]
	flat_store_dwordx2 v[21:22], v[54:55]
	s_andn2_b64 exec, exec, s[58:59]
	s_cbranch_execnz .LBB32_124
; %bb.125:                              ;   in Loop: Header=BB32_122 Depth=3
	s_or_b64 exec, exec, s[58:59]
	s_branch .LBB32_121
.LBB32_126:                             ;   in Loop: Header=BB32_47 Depth=2
	s_or_b64 exec, exec, s[46:47]
                                        ; implicit-def: $vgpr26_vgpr27
                                        ; implicit-def: $vgpr32_vgpr33
                                        ; implicit-def: $vgpr7
	s_andn2_saveexec_b64 s[14:15], s[44:45]
	s_cbranch_execnz .LBB32_116
	s_branch .LBB32_117
.LBB32_127:                             ;   in Loop: Header=BB32_8 Depth=1
	v_lshlrev_b64 v[13:14], 3, v[26:27]
	v_mov_b32_e32 v19, v26
	v_add_co_u32_e32 v7, vcc, v23, v13
	v_addc_co_u32_e32 v8, vcc, v4, v14, vcc
	flat_load_dwordx2 v[11:12], v[7:8]
	v_add_co_u32_e32 v17, vcc, v5, v13
	v_mov_b32_e32 v20, v27
	v_addc_co_u32_e32 v18, vcc, v6, v14, vcc
                                        ; implicit-def: $sgpr28_sgpr29
                                        ; implicit-def: $sgpr42_sgpr43
                                        ; implicit-def: $sgpr40_sgpr41
	buffer_store_dword v19, off, s[0:3], s32 offset:224 ; 4-byte Folded Spill
	s_nop 0
	buffer_store_dword v20, off, s[0:3], s32 offset:228 ; 4-byte Folded Spill
	s_branch .LBB32_129
.LBB32_128:                             ;   in Loop: Header=BB32_129 Depth=2
	s_or_b64 exec, exec, s[44:45]
	s_xor_b64 s[44:45], s[40:41], -1
	s_and_b64 s[46:47], exec, s[42:43]
	s_or_b64 s[26:27], s[46:47], s[26:27]
	v_add_co_u32_e32 v7, vcc, 8, v7
	s_andn2_b64 s[28:29], s[28:29], exec
	s_and_b64 s[44:45], s[44:45], exec
	v_addc_co_u32_e32 v8, vcc, 0, v8, vcc
	s_or_b64 s[28:29], s[28:29], s[44:45]
	s_andn2_b64 exec, exec, s[26:27]
	s_cbranch_execz .LBB32_131
.LBB32_129:                             ;   Parent Loop BB32_8 Depth=1
                                        ; =>  This Inner Loop Header: Depth=2
	s_waitcnt vmcnt(0) lgkmcnt(0)
	v_cmp_lt_f64_e64 vcc, |v[11:12]|, s[20:21]
	v_mov_b32_e32 v22, 0x100
	buffer_store_dword v19, off, s[0:3], s32 offset:80 ; 4-byte Folded Spill
	s_nop 0
	buffer_store_dword v20, off, s[0:3], s32 offset:84 ; 4-byte Folded Spill
	v_mov_b32_e32 v33, 0xffffff80
	v_mov_b32_e32 v21, 0x260
	;; [unrolled: 1-line block ×4, first 2 shown]
	flat_load_dwordx2 v[17:18], v[17:18]
	v_cndmask_b32_e32 v1, 0, v22, vcc
	v_ldexp_f64 v[11:12], |v[11:12]|, v1
	v_cndmask_b32_e32 v1, 0, v33, vcc
	s_or_b64 s[40:41], s[40:41], exec
	s_or_b64 s[42:43], s[42:43], exec
	v_rsq_f64_e32 v[13:14], v[11:12]
	v_cmp_class_f64_e32 vcc, v[11:12], v21
	v_mul_f64 v[19:20], v[11:12], v[13:14]
	v_mul_f64 v[13:14], v[13:14], 0.5
	v_fma_f64 v[27:28], -v[13:14], v[19:20], 0.5
	v_fma_f64 v[19:20], v[19:20], v[27:28], v[19:20]
	v_fma_f64 v[13:14], v[13:14], v[27:28], v[13:14]
	v_fma_f64 v[29:30], -v[19:20], v[19:20], v[11:12]
	v_fma_f64 v[19:20], v[29:30], v[13:14], v[19:20]
	v_fma_f64 v[27:28], -v[19:20], v[19:20], v[11:12]
	v_fma_f64 v[13:14], v[27:28], v[13:14], v[19:20]
	v_ldexp_f64 v[13:14], v[13:14], v1
	v_cndmask_b32_e32 v20, v14, v12, vcc
	v_cndmask_b32_e32 v19, v13, v11, vcc
	flat_load_dwordx2 v[11:12], v[7:8] offset:8
	s_waitcnt vmcnt(0) lgkmcnt(0)
	v_cmp_lt_f64_e64 vcc, |v[11:12]|, s[20:21]
	v_cndmask_b32_e32 v1, 0, v22, vcc
	v_ldexp_f64 v[13:14], |v[11:12]|, v1
	v_cndmask_b32_e32 v1, 0, v33, vcc
	v_rsq_f64_e32 v[27:28], v[13:14]
	v_cmp_class_f64_e32 vcc, v[13:14], v21
	v_mul_f64 v[29:30], v[13:14], v[27:28]
	v_mul_f64 v[27:28], v[27:28], 0.5
	v_fma_f64 v[31:32], -v[27:28], v[29:30], 0.5
	v_fma_f64 v[29:30], v[29:30], v[31:32], v[29:30]
	v_fma_f64 v[27:28], v[27:28], v[31:32], v[27:28]
	v_fma_f64 v[38:39], -v[29:30], v[29:30], v[13:14]
	v_fma_f64 v[29:30], v[38:39], v[27:28], v[29:30]
	v_fma_f64 v[31:32], -v[29:30], v[29:30], v[13:14]
	v_fma_f64 v[27:28], v[31:32], v[27:28], v[29:30]
	v_ldexp_f64 v[27:28], v[27:28], v1
	v_cndmask_b32_e32 v14, v28, v14, vcc
	v_cndmask_b32_e32 v13, v27, v13, vcc
	v_mul_f64 v[13:14], v[19:20], v[13:14]
	buffer_load_dword v19, off, s[0:3], s32 offset:112 ; 4-byte Folded Reload
	buffer_load_dword v20, off, s[0:3], s32 offset:116 ; 4-byte Folded Reload
	s_waitcnt vmcnt(0)
	v_mul_f64 v[13:14], v[19:20], v[13:14]
                                        ; implicit-def: $vgpr19_vgpr20
	v_cmp_nle_f64_e64 s[46:47], |v[17:18]|, v[13:14]
                                        ; implicit-def: $vgpr17_vgpr18
	s_and_saveexec_b64 s[44:45], s[46:47]
	s_cbranch_execz .LBB32_128
; %bb.130:                              ;   in Loop: Header=BB32_129 Depth=2
	buffer_load_dword v13, off, s[0:3], s32 offset:80 ; 4-byte Folded Reload
	buffer_load_dword v14, off, s[0:3], s32 offset:84 ; 4-byte Folded Reload
	s_andn2_b64 s[42:43], s[42:43], exec
	s_andn2_b64 s[40:41], s[40:41], exec
	s_waitcnt vmcnt(1)
	v_add_co_u32_e32 v19, vcc, 1, v13
	s_waitcnt vmcnt(0)
	v_addc_co_u32_e32 v20, vcc, 0, v14, vcc
	buffer_load_dword v13, off, s[0:3], s32 offset:120 ; 4-byte Folded Reload
	buffer_load_dword v14, off, s[0:3], s32 offset:124 ; 4-byte Folded Reload
	v_add_co_u32_e32 v17, vcc, 8, v44
	v_addc_co_u32_e32 v18, vcc, 0, v45, vcc
	s_waitcnt vmcnt(1)
	v_cmp_ge_i32_e32 vcc, v19, v13
	s_and_b64 s[46:47], vcc, exec
	s_or_b64 s[42:43], s[42:43], s[46:47]
	s_branch .LBB32_128
.LBB32_131:                             ;   in Loop: Header=BB32_8 Depth=1
	s_or_b64 exec, exec, s[26:27]
	buffer_load_dword v11, off, s[0:3], s32 offset:120 ; 4-byte Folded Reload
	buffer_load_dword v12, off, s[0:3], s32 offset:124 ; 4-byte Folded Reload
	;; [unrolled: 1-line block ×4, first 2 shown]
	s_andn2_b64 s[12:13], s[12:13], exec
	s_and_b64 s[26:27], s[28:29], exec
	s_or_b64 s[12:13], s[12:13], s[26:27]
	s_mov_b64 s[26:27], exec
	s_waitcnt vmcnt(3)
	v_mov_b32_e32 v13, v11
	s_or_b64 exec, exec, s[24:25]
	s_and_saveexec_b64 s[24:25], s[12:13]
	s_cbranch_execz .LBB32_17
.LBB32_132:                             ;   in Loop: Header=BB32_8 Depth=1
	buffer_load_dword v7, off, s[0:3], s32 offset:64 ; 4-byte Folded Reload
	buffer_load_dword v8, off, s[0:3], s32 offset:68 ; 4-byte Folded Reload
	s_andn2_b64 s[26:27], s[26:27], exec
	s_waitcnt vmcnt(0)
	global_load_dword v1, v[7:8], off offset:4
	s_waitcnt vmcnt(0)
	ds_write_b32 v1, v13
	s_or_b64 exec, exec, s[24:25]
	s_and_saveexec_b64 s[12:13], s[26:27]
	s_cbranch_execnz .LBB32_18
	s_branch .LBB32_19
.LBB32_133:                             ;   in Loop: Header=BB32_8 Depth=1
	s_or_b64 exec, exec, s[40:41]
.LBB32_134:                             ;   in Loop: Header=BB32_8 Depth=1
	s_or_b64 exec, exec, s[28:29]
                                        ; implicit-def: $vgpr1
                                        ; implicit-def: $vgpr14
                                        ; implicit-def: $vgpr60
                                        ; implicit-def: $vgpr13
.LBB32_135:                             ;   in Loop: Header=BB32_8 Depth=1
	s_andn2_saveexec_b64 s[14:15], s[26:27]
	s_cbranch_execz .LBB32_222
; %bb.136:                              ;   in Loop: Header=BB32_8 Depth=1
	s_and_saveexec_b64 s[26:27], s[12:13]
	s_cbranch_execz .LBB32_221
; %bb.137:                              ;   in Loop: Header=BB32_8 Depth=1
	s_mov_b64 s[28:29], 0
	s_branch .LBB32_140
.LBB32_138:                             ;   in Loop: Header=BB32_140 Depth=2
	s_or_b64 exec, exec, s[42:43]
	s_waitcnt vmcnt(0) lgkmcnt(0)
	s_barrier
	ds_read_b32 v60, v1
.LBB32_139:                             ;   in Loop: Header=BB32_140 Depth=2
	s_or_b64 exec, exec, s[40:41]
	buffer_load_dword v7, off, s[0:3], s32 offset:72 ; 4-byte Folded Reload
	buffer_load_dword v8, off, s[0:3], s32 offset:76 ; 4-byte Folded Reload
	s_waitcnt vmcnt(1)
	ds_read_b32 v14, v7
	buffer_load_dword v7, off, s[0:3], s32 offset:88 ; 4-byte Folded Reload
	s_waitcnt lgkmcnt(0)
	v_cmp_lt_i32_e32 vcc, v60, v14
	s_waitcnt vmcnt(0)
	ds_read_b32 v13, v7
	buffer_load_dword v7, off, s[0:3], s32 offset:100 ; 4-byte Folded Reload
	s_waitcnt vmcnt(0) lgkmcnt(0)
	v_cmp_ge_i32_e64 s[12:13], v13, v7
	s_or_b64 s[12:13], vcc, s[12:13]
	s_and_b64 s[12:13], exec, s[12:13]
	s_or_b64 s[28:29], s[12:13], s[28:29]
	s_andn2_b64 exec, exec, s[28:29]
	s_cbranch_execz .LBB32_220
.LBB32_140:                             ;   Parent Loop BB32_8 Depth=1
                                        ; =>  This Loop Header: Depth=2
                                        ;       Child Loop BB32_177 Depth 3
                                        ;       Child Loop BB32_162 Depth 3
	;; [unrolled: 1-line block ×3, first 2 shown]
                                        ;         Child Loop BB32_217 Depth 4
                                        ; implicit-def: $vgpr50
	s_and_saveexec_b64 s[12:13], s[4:5]
	s_xor_b64 s[12:13], exec, s[12:13]
	s_cbranch_execz .LBB32_142
; %bb.141:                              ;   in Loop: Header=BB32_140 Depth=2
	buffer_load_dword v7, off, s[0:3], s32 offset:64 ; 4-byte Folded Reload
	buffer_load_dword v8, off, s[0:3], s32 offset:68 ; 4-byte Folded Reload
                                        ; implicit-def: $vgpr60
                                        ; implicit-def: $vgpr14
                                        ; implicit-def: $vgpr13
	s_waitcnt vmcnt(0)
	global_load_dword v50, v[7:8], off offset:4
.LBB32_142:                             ;   in Loop: Header=BB32_140 Depth=2
	s_andn2_saveexec_b64 s[40:41], s[12:13]
	s_cbranch_execz .LBB32_211
; %bb.143:                              ;   in Loop: Header=BB32_140 Depth=2
	v_cmp_le_i32_e32 vcc, v60, v14
	s_mov_b64 s[44:45], 0
	v_ashrrev_i32_e32 v61, 31, v60
	s_mov_b64 s[12:13], 0
                                        ; implicit-def: $vgpr7_vgpr8
	s_and_saveexec_b64 s[42:43], vcc
	s_xor_b64 s[42:43], exec, s[42:43]
	s_cbranch_execnz .LBB32_174
; %bb.144:                              ;   in Loop: Header=BB32_140 Depth=2
	s_or_saveexec_b64 s[42:43], s[42:43]
	v_mov_b32_e32 v28, v60
	s_xor_b64 exec, exec, s[42:43]
	s_cbranch_execnz .LBB32_175
.LBB32_145:                             ;   in Loop: Header=BB32_140 Depth=2
	s_or_b64 exec, exec, s[42:43]
                                        ; implicit-def: $vgpr50
	s_and_saveexec_b64 s[42:43], s[12:13]
	s_cbranch_execnz .LBB32_180
.LBB32_146:                             ;   in Loop: Header=BB32_140 Depth=2
	s_or_b64 exec, exec, s[42:43]
	s_and_saveexec_b64 s[12:13], s[44:45]
	s_cbranch_execz .LBB32_148
.LBB32_147:                             ;   in Loop: Header=BB32_140 Depth=2
	buffer_load_dword v7, off, s[0:3], s32 offset:64 ; 4-byte Folded Reload
	buffer_load_dword v8, off, s[0:3], s32 offset:68 ; 4-byte Folded Reload
	v_mov_b32_e32 v28, v0
	s_waitcnt vmcnt(0)
	global_load_dword v50, v[7:8], off offset:4
	s_nop 0
	global_load_dword v7, v[7:8], off offset:16
	s_waitcnt vmcnt(1)
	ds_write_b32 v50, v0
	s_waitcnt vmcnt(0)
	ds_write_b32 v7, v60
	buffer_load_dword v7, off, s[0:3], s32 offset:92 ; 4-byte Folded Reload
	buffer_load_dword v8, off, s[0:3], s32 offset:96 ; 4-byte Folded Reload
	s_waitcnt vmcnt(1)
	v_mov_b32_e32 v11, v7
	v_mov_b32_e32 v12, v7
	buffer_store_dword v7, off, s[0:3], s32 offset:92 ; 4-byte Folded Spill
	s_waitcnt vmcnt(1)
	buffer_store_dword v8, off, s[0:3], s32 offset:96 ; 4-byte Folded Spill
	flat_store_dwordx2 v[46:47], v[11:12]
	buffer_load_dword v7, off, s[0:3], s32 offset:144 ; 4-byte Folded Reload
	s_nop 0
	buffer_load_dword v8, off, s[0:3], s32 offset:148 ; 4-byte Folded Reload
.LBB32_148:                             ;   in Loop: Header=BB32_140 Depth=2
	s_or_b64 exec, exec, s[12:13]
	s_waitcnt vmcnt(0)
	v_lshlrev_b64 v[26:27], 3, v[7:8]
	buffer_load_dword v7, off, s[0:3], s32 offset:64 ; 4-byte Folded Reload
	buffer_load_dword v8, off, s[0:3], s32 offset:68 ; 4-byte Folded Reload
	v_add_co_u32_e32 v61, vcc, v23, v26
	v_addc_co_u32_e32 v62, vcc, v4, v27, vcc
	v_cmp_ne_u32_e32 vcc, v28, v60
	s_waitcnt vmcnt(0)
	global_load_dword v58, v[7:8], off offset:8
	flat_load_dwordx2 v[30:31], v[61:62]
	v_add_u32_e32 v7, -1, v60
	s_waitcnt vmcnt(0) lgkmcnt(0)
	ds_write_b64 v58, v[30:31]
	s_and_saveexec_b64 s[12:13], vcc
	s_xor_b64 s[42:43], exec, s[12:13]
	s_cbranch_execz .LBB32_208
; %bb.149:                              ;   in Loop: Header=BB32_140 Depth=2
	v_cmp_ne_u32_e32 vcc, v28, v7
	v_ashrrev_i32_e32 v29, 31, v28
	s_and_saveexec_b64 s[12:13], vcc
	s_xor_b64 s[44:45], exec, s[12:13]
	s_cbranch_execz .LBB32_184
; %bb.150:                              ;   in Loop: Header=BB32_140 Depth=2
	buffer_load_dword v11, off, s[0:3], s32 offset:88 ; 4-byte Folded Reload
	v_add_u32_e32 v8, 1, v13
	s_waitcnt vmcnt(0)
	ds_write_b32 v11, v8
	v_ashrrev_i32_e32 v8, 31, v7
	v_add_co_u32_e32 v11, vcc, -8, v61
	v_lshlrev_b64 v[7:8], 3, v[7:8]
	v_addc_co_u32_e32 v12, vcc, -1, v62, vcc
	v_add_co_u32_e32 v7, vcc, v5, v7
	v_addc_co_u32_e32 v8, vcc, v6, v8, vcc
	flat_load_dwordx2 v[11:12], v[11:12]
	s_waitcnt vmcnt(0) lgkmcnt(0)
	v_add_f64 v[11:12], v[11:12], -v[30:31]
	flat_load_dwordx2 v[7:8], v[7:8]
	s_waitcnt vmcnt(0) lgkmcnt(0)
	v_add_f64 v[13:14], v[7:8], v[7:8]
	v_div_scale_f64 v[17:18], s[12:13], v[13:14], v[13:14], v[11:12]
	v_rcp_f64_e32 v[19:20], v[17:18]
	v_fma_f64 v[21:22], -v[17:18], v[19:20], 1.0
	v_fma_f64 v[19:20], v[19:20], v[21:22], v[19:20]
	v_fma_f64 v[21:22], -v[17:18], v[19:20], 1.0
	v_fma_f64 v[19:20], v[19:20], v[21:22], v[19:20]
	v_div_scale_f64 v[21:22], vcc, v[11:12], v[13:14], v[11:12]
	v_mul_f64 v[32:33], v[21:22], v[19:20]
	v_fma_f64 v[17:18], -v[17:18], v[32:33], v[21:22]
	s_nop 1
	v_div_fmas_f64 v[17:18], v[17:18], v[19:20], v[32:33]
	v_mov_b32_e32 v32, 0
	v_mov_b32_e32 v33, 0
	v_div_fixup_f64 v[11:12], v[17:18], v[13:14], v[11:12]
	v_mov_b32_e32 v17, 0x100
	v_fma_f64 v[13:14], v[11:12], v[11:12], 1.0
	v_cmp_nle_f64_e32 vcc, 0, v[11:12]
	v_cmp_gt_f64_e64 s[12:13], s[20:21], v[13:14]
	v_cndmask_b32_e64 v17, 0, v17, s[12:13]
	v_ldexp_f64 v[13:14], v[13:14], v17
	v_rsq_f64_e32 v[17:18], v[13:14]
	v_mul_f64 v[19:20], v[13:14], v[17:18]
	v_mul_f64 v[17:18], v[17:18], 0.5
	v_fma_f64 v[21:22], -v[17:18], v[19:20], 0.5
	v_fma_f64 v[19:20], v[19:20], v[21:22], v[19:20]
	v_fma_f64 v[17:18], v[17:18], v[21:22], v[17:18]
	v_fma_f64 v[38:39], -v[19:20], v[19:20], v[13:14]
	v_fma_f64 v[19:20], v[38:39], v[17:18], v[19:20]
	v_fma_f64 v[21:22], -v[19:20], v[19:20], v[13:14]
	v_fma_f64 v[17:18], v[21:22], v[17:18], v[19:20]
	v_mov_b32_e32 v19, 0xffffff80
	v_cndmask_b32_e64 v19, 0, v19, s[12:13]
	v_ldexp_f64 v[17:18], v[17:18], v19
	v_mov_b32_e32 v19, 0x260
	v_cmp_class_f64_e64 s[12:13], v[13:14], v19
	v_lshlrev_b64 v[19:20], 3, v[28:29]
	v_cndmask_b32_e64 v14, v18, v14, s[12:13]
	v_cndmask_b32_e64 v51, v17, v13, s[12:13]
	v_and_b32_e32 v13, 0x7fffffff, v14
	v_or_b32_e32 v14, 0x80000000, v14
	v_cndmask_b32_e32 v52, v13, v14, vcc
	v_add_co_u32_e32 v17, vcc, v23, v19
	v_addc_co_u32_e32 v18, vcc, v4, v20, vcc
	flat_load_dwordx2 v[13:14], v[17:18]
	v_add_f64 v[11:12], v[11:12], v[51:52]
	s_waitcnt vmcnt(0) lgkmcnt(0)
	v_add_f64 v[29:30], v[13:14], -v[30:31]
	v_div_scale_f64 v[13:14], s[12:13], v[11:12], v[11:12], v[7:8]
	v_rcp_f64_e32 v[21:22], v[13:14]
	v_fma_f64 v[38:39], -v[13:14], v[21:22], 1.0
	v_fma_f64 v[21:22], v[21:22], v[38:39], v[21:22]
	v_fma_f64 v[38:39], -v[13:14], v[21:22], 1.0
	v_fma_f64 v[21:22], v[21:22], v[38:39], v[21:22]
	v_div_scale_f64 v[38:39], vcc, v[7:8], v[11:12], v[7:8]
	v_mul_f64 v[51:52], v[38:39], v[21:22]
	v_fma_f64 v[13:14], -v[13:14], v[51:52], v[38:39]
	s_nop 1
	v_div_fmas_f64 v[13:14], v[13:14], v[21:22], v[51:52]
	v_cmp_lt_i32_e32 vcc, v28, v60
	v_div_fixup_f64 v[7:8], v[13:14], v[11:12], v[7:8]
	buffer_load_dword v11, off, s[0:3], s32 offset:92 ; 4-byte Folded Reload
	buffer_load_dword v12, off, s[0:3], s32 offset:96 ; 4-byte Folded Reload
	v_add_f64 v[7:8], v[29:30], v[7:8]
	s_waitcnt vmcnt(0)
	v_mov_b32_e32 v12, v11
	v_mov_b32_e32 v13, v11
	buffer_store_dword v11, off, s[0:3], s32 offset:92 ; 4-byte Folded Spill
	s_nop 0
	buffer_store_dword v12, off, s[0:3], s32 offset:96 ; 4-byte Folded Spill
	ds_write_b64 v58, v[12:13]
	s_and_saveexec_b64 s[12:13], vcc
	s_cbranch_execz .LBB32_183
; %bb.151:                              ;   in Loop: Header=BB32_140 Depth=2
	v_add_co_u32_e32 v11, vcc, v5, v19
	v_addc_co_u32_e32 v12, vcc, v6, v20, vcc
	flat_load_dwordx2 v[11:12], v[11:12]
	v_mov_b32_e32 v31, 0
	v_mov_b32_e32 v29, 0
	;; [unrolled: 1-line block ×4, first 2 shown]
	s_waitcnt vmcnt(0) lgkmcnt(0)
	v_cmp_neq_f64_e32 vcc, 0, v[11:12]
	s_and_saveexec_b64 s[46:47], vcc
	s_cbranch_execz .LBB32_159
; %bb.152:                              ;   in Loop: Header=BB32_140 Depth=2
	v_cmp_neq_f64_e32 vcc, 0, v[7:8]
	v_mov_b32_e32 v29, 0
	v_mov_b32_e32 v31, 0
	;; [unrolled: 1-line block ×4, first 2 shown]
	s_and_saveexec_b64 s[56:57], vcc
	s_cbranch_execz .LBB32_158
; %bb.153:                              ;   in Loop: Header=BB32_140 Depth=2
	v_cmp_ngt_f64_e64 s[58:59], |v[11:12]|, |v[7:8]|
                                        ; implicit-def: $vgpr31_vgpr32
                                        ; implicit-def: $vgpr29_vgpr30
	s_and_saveexec_b64 s[60:61], s[58:59]
	s_xor_b64 s[58:59], exec, s[60:61]
	s_cbranch_execz .LBB32_155
; %bb.154:                              ;   in Loop: Header=BB32_140 Depth=2
	v_div_scale_f64 v[13:14], s[60:61], v[7:8], v[7:8], -v[11:12]
	v_rcp_f64_e32 v[21:22], v[13:14]
	v_fma_f64 v[29:30], -v[13:14], v[21:22], 1.0
	v_fma_f64 v[21:22], v[21:22], v[29:30], v[21:22]
	v_div_scale_f64 v[29:30], vcc, -v[11:12], v[7:8], -v[11:12]
	v_fma_f64 v[31:32], -v[13:14], v[21:22], 1.0
	v_fma_f64 v[21:22], v[21:22], v[31:32], v[21:22]
	v_mul_f64 v[31:32], v[29:30], v[21:22]
	v_fma_f64 v[13:14], -v[13:14], v[31:32], v[29:30]
	v_div_fmas_f64 v[13:14], v[13:14], v[21:22], v[31:32]
	v_mov_b32_e32 v21, 0x100
	v_div_fixup_f64 v[7:8], v[13:14], v[7:8], -v[11:12]
	v_fma_f64 v[13:14], v[7:8], v[7:8], 1.0
	v_cmp_gt_f64_e32 vcc, s[20:21], v[13:14]
	v_cndmask_b32_e32 v21, 0, v21, vcc
	v_ldexp_f64 v[13:14], v[13:14], v21
	v_rsq_f64_e32 v[21:22], v[13:14]
	v_mul_f64 v[29:30], v[13:14], v[21:22]
	v_mul_f64 v[21:22], v[21:22], 0.5
	v_fma_f64 v[31:32], -v[21:22], v[29:30], 0.5
	v_fma_f64 v[29:30], v[29:30], v[31:32], v[29:30]
	v_fma_f64 v[21:22], v[21:22], v[31:32], v[21:22]
	v_fma_f64 v[31:32], -v[29:30], v[29:30], v[13:14]
	v_fma_f64 v[29:30], v[31:32], v[21:22], v[29:30]
	v_fma_f64 v[31:32], -v[29:30], v[29:30], v[13:14]
	v_fma_f64 v[21:22], v[31:32], v[21:22], v[29:30]
	v_mov_b32_e32 v29, 0xffffff80
	v_cndmask_b32_e32 v29, 0, v29, vcc
	v_ldexp_f64 v[21:22], v[21:22], v29
	v_mov_b32_e32 v29, 0x260
	v_cmp_class_f64_e32 vcc, v[13:14], v29
	v_cndmask_b32_e32 v14, v22, v14, vcc
	v_cndmask_b32_e32 v13, v21, v13, vcc
	v_div_scale_f64 v[21:22], s[60:61], v[13:14], v[13:14], 1.0
	v_div_scale_f64 v[38:39], vcc, 1.0, v[13:14], 1.0
	v_rcp_f64_e32 v[29:30], v[21:22]
	v_fma_f64 v[31:32], -v[21:22], v[29:30], 1.0
	v_fma_f64 v[29:30], v[29:30], v[31:32], v[29:30]
	v_fma_f64 v[31:32], -v[21:22], v[29:30], 1.0
	v_fma_f64 v[29:30], v[29:30], v[31:32], v[29:30]
	v_mul_f64 v[31:32], v[38:39], v[29:30]
	v_fma_f64 v[21:22], -v[21:22], v[31:32], v[38:39]
	v_div_fmas_f64 v[21:22], v[21:22], v[29:30], v[31:32]
	v_div_fixup_f64 v[29:30], v[21:22], v[13:14], 1.0
	v_mul_f64 v[31:32], v[7:8], v[29:30]
                                        ; implicit-def: $vgpr7_vgpr8
.LBB32_155:                             ;   in Loop: Header=BB32_140 Depth=2
	s_andn2_saveexec_b64 s[58:59], s[58:59]
	s_cbranch_execz .LBB32_157
; %bb.156:                              ;   in Loop: Header=BB32_140 Depth=2
	v_div_scale_f64 v[13:14], s[60:61], v[11:12], v[11:12], -v[7:8]
	v_rcp_f64_e32 v[21:22], v[13:14]
	v_fma_f64 v[29:30], -v[13:14], v[21:22], 1.0
	v_fma_f64 v[21:22], v[21:22], v[29:30], v[21:22]
	v_div_scale_f64 v[29:30], vcc, -v[7:8], v[11:12], -v[7:8]
	v_fma_f64 v[31:32], -v[13:14], v[21:22], 1.0
	v_fma_f64 v[21:22], v[21:22], v[31:32], v[21:22]
	v_mul_f64 v[31:32], v[29:30], v[21:22]
	v_fma_f64 v[13:14], -v[13:14], v[31:32], v[29:30]
	v_div_fmas_f64 v[13:14], v[13:14], v[21:22], v[31:32]
	v_mov_b32_e32 v21, 0x100
	v_div_fixup_f64 v[7:8], v[13:14], v[11:12], -v[7:8]
	v_fma_f64 v[13:14], v[7:8], v[7:8], 1.0
	v_cmp_gt_f64_e32 vcc, s[20:21], v[13:14]
	v_cndmask_b32_e32 v21, 0, v21, vcc
	v_ldexp_f64 v[13:14], v[13:14], v21
	v_rsq_f64_e32 v[21:22], v[13:14]
	v_mul_f64 v[29:30], v[13:14], v[21:22]
	v_mul_f64 v[21:22], v[21:22], 0.5
	v_fma_f64 v[31:32], -v[21:22], v[29:30], 0.5
	v_fma_f64 v[29:30], v[29:30], v[31:32], v[29:30]
	v_fma_f64 v[21:22], v[21:22], v[31:32], v[21:22]
	v_fma_f64 v[31:32], -v[29:30], v[29:30], v[13:14]
	v_fma_f64 v[29:30], v[31:32], v[21:22], v[29:30]
	v_fma_f64 v[31:32], -v[29:30], v[29:30], v[13:14]
	v_fma_f64 v[21:22], v[31:32], v[21:22], v[29:30]
	v_mov_b32_e32 v29, 0xffffff80
	v_cndmask_b32_e32 v29, 0, v29, vcc
	v_ldexp_f64 v[21:22], v[21:22], v29
	v_mov_b32_e32 v29, 0x260
	v_cmp_class_f64_e32 vcc, v[13:14], v29
	v_cndmask_b32_e32 v14, v22, v14, vcc
	v_cndmask_b32_e32 v13, v21, v13, vcc
	v_div_scale_f64 v[21:22], s[60:61], v[13:14], v[13:14], 1.0
	v_div_scale_f64 v[38:39], vcc, 1.0, v[13:14], 1.0
	v_rcp_f64_e32 v[29:30], v[21:22]
	v_fma_f64 v[31:32], -v[21:22], v[29:30], 1.0
	v_fma_f64 v[29:30], v[29:30], v[31:32], v[29:30]
	v_fma_f64 v[31:32], -v[21:22], v[29:30], 1.0
	v_fma_f64 v[29:30], v[29:30], v[31:32], v[29:30]
	v_mul_f64 v[31:32], v[38:39], v[29:30]
	v_fma_f64 v[21:22], -v[21:22], v[31:32], v[38:39]
	v_div_fmas_f64 v[21:22], v[21:22], v[29:30], v[31:32]
	v_div_fixup_f64 v[31:32], v[21:22], v[13:14], 1.0
	v_mul_f64 v[29:30], v[7:8], v[31:32]
.LBB32_157:                             ;   in Loop: Header=BB32_140 Depth=2
	s_or_b64 exec, exec, s[58:59]
.LBB32_158:                             ;   in Loop: Header=BB32_140 Depth=2
	s_or_b64 exec, exec, s[56:57]
.LBB32_159:                             ;   in Loop: Header=BB32_140 Depth=2
	s_or_b64 exec, exec, s[46:47]
	flat_load_dwordx4 v[40:43], v[17:18]
	v_add_f64 v[13:14], v[29:30], v[29:30]
	v_xor_b32_e32 v39, 0x80000000, v32
	v_mov_b32_e32 v38, v31
	s_waitcnt vmcnt(0) lgkmcnt(0)
	v_add_f64 v[7:8], v[42:43], -v[40:41]
	v_mul_f64 v[7:8], v[31:32], v[7:8]
	v_fma_f64 v[7:8], v[11:12], v[13:14], -v[7:8]
	buffer_load_dword v14, off, s[0:3], s32 offset:140 ; 4-byte Folded Reload
	v_add_u32_e32 v13, 1, v28
	v_mul_f64 v[21:22], v[7:8], -v[31:32]
	v_fma_f64 v[31:32], v[7:8], -v[31:32], v[40:41]
	v_fma_f64 v[7:8], v[29:30], v[7:8], -v[11:12]
	s_waitcnt vmcnt(0)
	v_add_co_u32_e32 v19, vcc, v14, v19
	buffer_load_dword v14, off, s[0:3], s32 offset:136 ; 4-byte Folded Reload
	buffer_load_dword v11, off, s[0:3], s32 offset:104 ; 4-byte Folded Reload
	;; [unrolled: 1-line block ×3, first 2 shown]
	ds_write_b64 v58, v[21:22]
	s_waitcnt vmcnt(2)
	v_addc_co_u32_e32 v20, vcc, v14, v20, vcc
	s_waitcnt vmcnt(1)
	v_add_co_u32_e32 v11, vcc, v19, v11
	s_waitcnt vmcnt(0)
	v_addc_co_u32_e32 v12, vcc, v20, v12, vcc
	v_cmp_lt_i32_e32 vcc, v13, v60
	flat_store_dwordx2 v[17:18], v[31:32]
	flat_store_dwordx2 v[19:20], v[29:30]
	;; [unrolled: 1-line block ×3, first 2 shown]
	s_and_saveexec_b64 s[46:47], vcc
	s_cbranch_execz .LBB32_182
; %bb.160:                              ;   in Loop: Header=BB32_140 Depth=2
	v_ashrrev_i32_e32 v14, 31, v13
	v_lshlrev_b64 v[11:12], 3, v[13:14]
	buffer_load_dword v13, off, s[0:3], s32 offset:140 ; 4-byte Folded Reload
	s_mov_b32 s72, 1
	s_mov_b64 s[56:57], 0
	s_waitcnt vmcnt(0)
	v_add_co_u32_e32 v17, vcc, v13, v11
	buffer_load_dword v13, off, s[0:3], s32 offset:136 ; 4-byte Folded Reload
	s_waitcnt vmcnt(0)
	v_addc_co_u32_e32 v18, vcc, v13, v12, vcc
	buffer_load_dword v13, off, s[0:3], s32 offset:204 ; 4-byte Folded Reload
	v_add_co_u32_e32 v51, vcc, v23, v11
	v_addc_co_u32_e32 v52, vcc, v4, v12, vcc
	s_waitcnt vmcnt(0)
	v_add_co_u32_e32 v19, vcc, v13, v11
	buffer_load_dword v11, off, s[0:3], s32 offset:208 ; 4-byte Folded Reload
	s_waitcnt vmcnt(0)
	v_addc_co_u32_e32 v20, vcc, v11, v12, vcc
	s_branch .LBB32_162
.LBB32_161:                             ;   in Loop: Header=BB32_162 Depth=3
	flat_load_dwordx4 v[11:14], v[51:52]
	ds_read_b64 v[7:8], v58
	v_add_f64 v[21:22], v[54:55], v[54:55]
	v_add_co_u32_e32 v19, vcc, 8, v19
	v_addc_co_u32_e32 v20, vcc, 0, v20, vcc
	v_mov_b32_e32 v38, v40
	s_add_i32 s72, s72, 1
	v_xor_b32_e32 v39, 0x80000000, v41
	s_waitcnt vmcnt(0) lgkmcnt(0)
	v_add_f64 v[7:8], v[11:12], -v[7:8]
	v_add_f64 v[11:12], v[13:14], -v[7:8]
	v_mul_f64 v[13:14], v[29:30], v[31:32]
	v_mul_f64 v[11:12], v[40:41], v[11:12]
	v_fma_f64 v[11:12], v[13:14], v[21:22], -v[11:12]
	v_add_co_u32_e32 v21, vcc, 8, v51
	v_addc_co_u32_e32 v22, vcc, 0, v52, vcc
	v_fma_f64 v[31:32], v[11:12], -v[40:41], v[7:8]
	buffer_load_dword v7, off, s[0:3], s32 offset:104 ; 4-byte Folded Reload
	buffer_load_dword v8, off, s[0:3], s32 offset:108 ; 4-byte Folded Reload
	v_mul_f64 v[29:30], v[11:12], -v[40:41]
	ds_write_b64 v58, v[29:30]
	v_mov_b32_e32 v29, v54
	v_mov_b32_e32 v30, v55
	s_waitcnt vmcnt(1)
	v_add_co_u32_e32 v40, vcc, v17, v7
	s_waitcnt vmcnt(0)
	v_addc_co_u32_e32 v41, vcc, v18, v8, vcc
	v_add_u32_e32 v7, s72, v28
	v_cmp_ge_i32_e32 vcc, v7, v60
	v_fma_f64 v[7:8], v[54:55], v[11:12], -v[13:14]
	s_or_b64 s[56:57], vcc, s[56:57]
	flat_store_dwordx2 v[51:52], v[31:32]
	flat_store_dwordx2 v[17:18], v[54:55]
	;; [unrolled: 1-line block ×3, first 2 shown]
	v_add_co_u32_e32 v17, vcc, 8, v17
	v_mov_b32_e32 v52, v22
	v_addc_co_u32_e32 v18, vcc, 0, v18, vcc
	v_mov_b32_e32 v51, v21
	s_andn2_b64 exec, exec, s[56:57]
	s_cbranch_execz .LBB32_181
.LBB32_162:                             ;   Parent Loop BB32_8 Depth=1
                                        ;     Parent Loop BB32_140 Depth=2
                                        ; =>    This Inner Loop Header: Depth=3
	flat_load_dwordx2 v[31:32], v[19:20] offset:8
	v_mov_b32_e32 v40, 0
	v_mov_b32_e32 v54, 0
	v_mov_b32_e32 v41, 0
	v_mov_b32_e32 v55, 0x3ff00000
	s_waitcnt vmcnt(0) lgkmcnt(0)
	v_mul_f64 v[11:12], v[38:39], v[31:32]
	v_cmp_neq_f64_e32 vcc, 0, v[11:12]
	s_and_saveexec_b64 s[58:59], vcc
	s_cbranch_execz .LBB32_172
; %bb.163:                              ;   in Loop: Header=BB32_162 Depth=3
	v_cmp_neq_f64_e32 vcc, 0, v[7:8]
	v_xor_b32_e32 v14, 0x80000000, v12
	v_mov_b32_e32 v13, v11
                                        ; implicit-def: $vgpr40_vgpr41
                                        ; implicit-def: $vgpr54_vgpr55
	s_and_saveexec_b64 s[60:61], vcc
	s_xor_b64 s[60:61], exec, s[60:61]
	s_cbranch_execz .LBB32_169
; %bb.164:                              ;   in Loop: Header=BB32_162 Depth=3
	v_cmp_ngt_f64_e64 s[62:63], |v[11:12]|, |v[7:8]|
                                        ; implicit-def: $vgpr40_vgpr41
                                        ; implicit-def: $vgpr54_vgpr55
	s_and_saveexec_b64 s[74:75], s[62:63]
	s_xor_b64 s[62:63], exec, s[74:75]
	s_cbranch_execz .LBB32_166
; %bb.165:                              ;   in Loop: Header=BB32_162 Depth=3
	v_div_scale_f64 v[13:14], s[74:75], v[7:8], v[7:8], -v[11:12]
	v_mov_b32_e32 v33, 0x100
	v_rcp_f64_e32 v[21:22], v[13:14]
	v_fma_f64 v[38:39], -v[13:14], v[21:22], 1.0
	v_fma_f64 v[21:22], v[21:22], v[38:39], v[21:22]
	v_div_scale_f64 v[38:39], vcc, -v[11:12], v[7:8], -v[11:12]
	v_fma_f64 v[54:55], -v[13:14], v[21:22], 1.0
	v_fma_f64 v[21:22], v[21:22], v[54:55], v[21:22]
	v_mul_f64 v[54:55], v[38:39], v[21:22]
	v_fma_f64 v[13:14], -v[13:14], v[54:55], v[38:39]
	v_div_fmas_f64 v[13:14], v[13:14], v[21:22], v[54:55]
	v_div_fixup_f64 v[13:14], v[13:14], v[7:8], -v[11:12]
	v_fma_f64 v[21:22], v[13:14], v[13:14], 1.0
	v_cmp_gt_f64_e32 vcc, s[20:21], v[21:22]
	v_cndmask_b32_e32 v33, 0, v33, vcc
	v_ldexp_f64 v[21:22], v[21:22], v33
	v_mov_b32_e32 v33, 0xffffff80
	v_cndmask_b32_e32 v33, 0, v33, vcc
	v_rsq_f64_e32 v[38:39], v[21:22]
	v_mul_f64 v[54:55], v[21:22], v[38:39]
	v_mul_f64 v[38:39], v[38:39], 0.5
	v_fma_f64 v[40:41], -v[38:39], v[54:55], 0.5
	v_fma_f64 v[54:55], v[54:55], v[40:41], v[54:55]
	v_fma_f64 v[38:39], v[38:39], v[40:41], v[38:39]
	v_fma_f64 v[40:41], -v[54:55], v[54:55], v[21:22]
	v_fma_f64 v[54:55], v[40:41], v[38:39], v[54:55]
	v_fma_f64 v[40:41], -v[54:55], v[54:55], v[21:22]
	v_fma_f64 v[38:39], v[40:41], v[38:39], v[54:55]
	v_ldexp_f64 v[38:39], v[38:39], v33
	v_mov_b32_e32 v33, 0x260
	v_cmp_class_f64_e32 vcc, v[21:22], v33
	v_cndmask_b32_e32 v22, v39, v22, vcc
	v_cndmask_b32_e32 v21, v38, v21, vcc
	v_div_scale_f64 v[38:39], s[74:75], v[21:22], v[21:22], 1.0
	v_div_scale_f64 v[42:43], vcc, 1.0, v[21:22], 1.0
	v_rcp_f64_e32 v[54:55], v[38:39]
	v_fma_f64 v[40:41], -v[38:39], v[54:55], 1.0
	v_fma_f64 v[54:55], v[54:55], v[40:41], v[54:55]
	v_fma_f64 v[40:41], -v[38:39], v[54:55], 1.0
	v_fma_f64 v[54:55], v[54:55], v[40:41], v[54:55]
	v_mul_f64 v[40:41], v[42:43], v[54:55]
	v_fma_f64 v[38:39], -v[38:39], v[40:41], v[42:43]
	v_div_fmas_f64 v[38:39], v[38:39], v[54:55], v[40:41]
	v_div_fixup_f64 v[54:55], v[38:39], v[21:22], 1.0
	v_mul_f64 v[40:41], v[13:14], v[54:55]
.LBB32_166:                             ;   in Loop: Header=BB32_162 Depth=3
	s_andn2_saveexec_b64 s[62:63], s[62:63]
	s_cbranch_execz .LBB32_168
; %bb.167:                              ;   in Loop: Header=BB32_162 Depth=3
	v_div_scale_f64 v[13:14], s[74:75], v[11:12], v[11:12], -v[7:8]
	v_mov_b32_e32 v33, 0x100
	v_rcp_f64_e32 v[21:22], v[13:14]
	v_fma_f64 v[38:39], -v[13:14], v[21:22], 1.0
	v_fma_f64 v[21:22], v[21:22], v[38:39], v[21:22]
	v_div_scale_f64 v[38:39], vcc, -v[7:8], v[11:12], -v[7:8]
	v_fma_f64 v[54:55], -v[13:14], v[21:22], 1.0
	v_fma_f64 v[21:22], v[21:22], v[54:55], v[21:22]
	v_mul_f64 v[54:55], v[38:39], v[21:22]
	v_fma_f64 v[13:14], -v[13:14], v[54:55], v[38:39]
	v_div_fmas_f64 v[13:14], v[13:14], v[21:22], v[54:55]
	v_div_fixup_f64 v[13:14], v[13:14], v[11:12], -v[7:8]
	v_fma_f64 v[21:22], v[13:14], v[13:14], 1.0
	v_cmp_gt_f64_e32 vcc, s[20:21], v[21:22]
	v_cndmask_b32_e32 v33, 0, v33, vcc
	v_ldexp_f64 v[21:22], v[21:22], v33
	v_mov_b32_e32 v33, 0xffffff80
	v_cndmask_b32_e32 v33, 0, v33, vcc
	v_rsq_f64_e32 v[38:39], v[21:22]
	v_mul_f64 v[54:55], v[21:22], v[38:39]
	v_mul_f64 v[38:39], v[38:39], 0.5
	v_fma_f64 v[40:41], -v[38:39], v[54:55], 0.5
	v_fma_f64 v[54:55], v[54:55], v[40:41], v[54:55]
	v_fma_f64 v[38:39], v[38:39], v[40:41], v[38:39]
	v_fma_f64 v[40:41], -v[54:55], v[54:55], v[21:22]
	v_fma_f64 v[54:55], v[40:41], v[38:39], v[54:55]
	v_fma_f64 v[40:41], -v[54:55], v[54:55], v[21:22]
	v_fma_f64 v[38:39], v[40:41], v[38:39], v[54:55]
	v_ldexp_f64 v[38:39], v[38:39], v33
	v_mov_b32_e32 v33, 0x260
	v_cmp_class_f64_e32 vcc, v[21:22], v33
	v_cndmask_b32_e32 v22, v39, v22, vcc
	v_cndmask_b32_e32 v21, v38, v21, vcc
	v_div_scale_f64 v[38:39], s[74:75], v[21:22], v[21:22], 1.0
	v_div_scale_f64 v[42:43], vcc, 1.0, v[21:22], 1.0
	v_rcp_f64_e32 v[54:55], v[38:39]
	v_fma_f64 v[40:41], -v[38:39], v[54:55], 1.0
	v_fma_f64 v[54:55], v[54:55], v[40:41], v[54:55]
	v_fma_f64 v[40:41], -v[38:39], v[54:55], 1.0
	v_fma_f64 v[54:55], v[54:55], v[40:41], v[54:55]
	v_mul_f64 v[40:41], v[42:43], v[54:55]
	v_fma_f64 v[38:39], -v[38:39], v[40:41], v[42:43]
	v_div_fmas_f64 v[38:39], v[38:39], v[54:55], v[40:41]
	v_div_fixup_f64 v[40:41], v[38:39], v[21:22], 1.0
	v_mul_f64 v[54:55], v[13:14], v[40:41]
.LBB32_168:                             ;   in Loop: Header=BB32_162 Depth=3
	s_or_b64 exec, exec, s[62:63]
	v_mul_f64 v[11:12], v[11:12], v[40:41]
	v_fma_f64 v[13:14], v[7:8], v[54:55], -v[11:12]
.LBB32_169:                             ;   in Loop: Header=BB32_162 Depth=3
	s_andn2_saveexec_b64 s[60:61], s[60:61]
; %bb.170:                              ;   in Loop: Header=BB32_162 Depth=3
	v_mov_b32_e32 v54, 0
	v_mov_b32_e32 v40, 0
	;; [unrolled: 1-line block ×4, first 2 shown]
; %bb.171:                              ;   in Loop: Header=BB32_162 Depth=3
	s_or_b64 exec, exec, s[60:61]
	v_mov_b32_e32 v7, v13
	v_mov_b32_e32 v8, v14
.LBB32_172:                             ;   in Loop: Header=BB32_162 Depth=3
	s_or_b64 exec, exec, s[58:59]
	s_cmp_eq_u32 s72, 0
	s_cbranch_scc1 .LBB32_161
; %bb.173:                              ;   in Loop: Header=BB32_162 Depth=3
	flat_store_dwordx2 v[19:20], v[7:8]
	s_branch .LBB32_161
.LBB32_174:                             ;   in Loop: Header=BB32_140 Depth=2
	v_mov_b32_e32 v7, v60
	s_mov_b64 s[12:13], exec
	v_mov_b32_e32 v8, v61
                                        ; implicit-def: $vgpr14
	s_or_saveexec_b64 s[42:43], s[42:43]
	v_mov_b32_e32 v28, v60
	s_xor_b64 exec, exec, s[42:43]
	s_cbranch_execz .LBB32_145
.LBB32_175:                             ;   in Loop: Header=BB32_140 Depth=2
	buffer_store_dword v60, off, s[0:3], s32 offset:144 ; 4-byte Folded Spill
	s_nop 0
	buffer_store_dword v61, off, s[0:3], s32 offset:148 ; 4-byte Folded Spill
	buffer_load_dword v0, off, s[0:3], s32 offset:196 ; 4-byte Folded Reload
                                        ; implicit-def: $sgpr46_sgpr47
                                        ; implicit-def: $sgpr58_sgpr59
                                        ; implicit-def: $sgpr56_sgpr57
	v_lshlrev_b64 v[11:12], 3, v[60:61]
	v_mov_b32_e32 v17, v60
	s_waitcnt vmcnt(0)
	v_add_co_u32_e32 v7, vcc, v0, v11
	buffer_load_dword v0, off, s[0:3], s32 offset:200 ; 4-byte Folded Reload
	s_waitcnt vmcnt(0)
	v_addc_co_u32_e32 v8, vcc, v0, v12, vcc
	buffer_load_dword v0, off, s[0:3], s32 offset:204 ; 4-byte Folded Reload
	s_waitcnt vmcnt(0)
	v_add_co_u32_e32 v11, vcc, v0, v11
	buffer_load_dword v0, off, s[0:3], s32 offset:208 ; 4-byte Folded Reload
	s_waitcnt vmcnt(0)
	v_addc_co_u32_e32 v12, vcc, v0, v12, vcc
	s_branch .LBB32_177
.LBB32_176:                             ;   in Loop: Header=BB32_177 Depth=3
	s_or_b64 exec, exec, s[60:61]
	s_xor_b64 s[60:61], s[56:57], -1
	s_and_b64 s[62:63], exec, s[58:59]
	s_or_b64 s[44:45], s[62:63], s[44:45]
	s_andn2_b64 s[46:47], s[46:47], exec
	s_and_b64 s[60:61], s[60:61], exec
	s_or_b64 s[46:47], s[46:47], s[60:61]
	s_andn2_b64 exec, exec, s[44:45]
	s_cbranch_execz .LBB32_179
.LBB32_177:                             ;   Parent Loop BB32_8 Depth=1
                                        ;     Parent Loop BB32_140 Depth=2
                                        ; =>    This Inner Loop Header: Depth=3
	flat_load_dwordx4 v[26:29], v[7:8]
	v_mov_b32_e32 v47, v12
	v_mov_b32_e32 v46, v11
	flat_load_dwordx2 v[11:12], v[11:12]
	v_mov_b32_e32 v0, v17
	s_or_b64 s[56:57], s[56:57], exec
	s_or_b64 s[58:59], s[58:59], exec
                                        ; implicit-def: $vgpr17
	s_waitcnt vmcnt(0) lgkmcnt(0)
	v_mul_f64 v[18:19], v[28:29], v[26:27]
	v_mul_f64 v[11:12], v[11:12], v[11:12]
	v_mul_f64 v[18:19], v[34:35], |v[18:19]|
	v_cmp_nle_f64_e64 s[62:63], |v[11:12]|, v[18:19]
                                        ; implicit-def: $vgpr11_vgpr12
	s_and_saveexec_b64 s[60:61], s[62:63]
	s_cbranch_execz .LBB32_176
; %bb.178:                              ;   in Loop: Header=BB32_177 Depth=3
	v_add_co_u32_e32 v7, vcc, -8, v7
	v_addc_co_u32_e32 v8, vcc, -1, v8, vcc
	v_add_co_u32_e32 v11, vcc, -8, v46
	v_add_u32_e32 v17, -1, v0
	v_addc_co_u32_e32 v12, vcc, -1, v47, vcc
	v_cmp_le_i32_e32 vcc, v17, v14
	s_andn2_b64 s[58:59], s[58:59], exec
	s_and_b64 s[62:63], vcc, exec
	s_andn2_b64 s[56:57], s[56:57], exec
	s_or_b64 s[58:59], s[58:59], s[62:63]
	s_branch .LBB32_176
.LBB32_179:                             ;   in Loop: Header=BB32_140 Depth=2
	s_or_b64 exec, exec, s[44:45]
	buffer_load_dword v7, off, s[0:3], s32 offset:144 ; 4-byte Folded Reload
	buffer_load_dword v8, off, s[0:3], s32 offset:148 ; 4-byte Folded Reload
	s_andn2_b64 s[12:13], s[12:13], exec
	s_and_b64 s[44:45], s[46:47], exec
	s_or_b64 s[12:13], s[12:13], s[44:45]
	s_mov_b64 s[44:45], exec
	v_mov_b32_e32 v28, v14
	s_or_b64 exec, exec, s[42:43]
                                        ; implicit-def: $vgpr50
	s_and_saveexec_b64 s[42:43], s[12:13]
	s_cbranch_execz .LBB32_146
.LBB32_180:                             ;   in Loop: Header=BB32_140 Depth=2
	buffer_load_dword v11, off, s[0:3], s32 offset:64 ; 4-byte Folded Reload
	buffer_load_dword v12, off, s[0:3], s32 offset:68 ; 4-byte Folded Reload
	s_andn2_b64 s[44:45], s[44:45], exec
	s_waitcnt vmcnt(0)
	global_load_dword v50, v[11:12], off offset:4
	s_nop 0
	global_load_dword v11, v[11:12], off offset:16
	s_waitcnt vmcnt(1)
	ds_write_b32 v50, v28
	s_waitcnt vmcnt(0)
	ds_write_b32 v11, v60
	s_or_b64 exec, exec, s[42:43]
	s_and_saveexec_b64 s[12:13], s[44:45]
	s_cbranch_execnz .LBB32_147
	s_branch .LBB32_148
.LBB32_181:                             ;   in Loop: Header=BB32_140 Depth=2
	s_or_b64 exec, exec, s[56:57]
.LBB32_182:                             ;   in Loop: Header=BB32_140 Depth=2
	s_or_b64 exec, exec, s[46:47]
	ds_read_b64 v[32:33], v58
.LBB32_183:                             ;   in Loop: Header=BB32_140 Depth=2
	s_or_b64 exec, exec, s[12:13]
	flat_load_dwordx2 v[11:12], v[61:62]
	v_add_co_u32_e32 v13, vcc, v5, v26
	v_addc_co_u32_e32 v14, vcc, v6, v27, vcc
                                        ; implicit-def: $vgpr26_vgpr27
                                        ; implicit-def: $vgpr60
                                        ; implicit-def: $vgpr30_vgpr31
                                        ; implicit-def: $vgpr28
	s_waitcnt vmcnt(0) lgkmcnt(0)
	v_add_f64 v[11:12], v[11:12], -v[32:33]
	flat_store_dwordx2 v[61:62], v[11:12]
	v_add_co_u32_e32 v11, vcc, -8, v13
	v_addc_co_u32_e32 v12, vcc, -1, v14, vcc
	flat_store_dwordx2 v[11:12], v[7:8]
                                        ; implicit-def: $vgpr61
.LBB32_184:                             ;   in Loop: Header=BB32_140 Depth=2
	s_andn2_saveexec_b64 s[44:45], s[44:45]
	s_cbranch_execz .LBB32_219
; %bb.185:                              ;   in Loop: Header=BB32_140 Depth=2
	v_lshlrev_b64 v[54:55], 3, v[28:29]
                                        ; implicit-def: $vgpr19_vgpr20
	v_add_co_u32_e32 v7, vcc, v23, v54
	v_addc_co_u32_e32 v8, vcc, v4, v55, vcc
	v_add_co_u32_e32 v13, vcc, v5, v54
	v_addc_co_u32_e32 v14, vcc, v6, v55, vcc
	flat_load_dwordx2 v[11:12], v[7:8]
	flat_load_dwordx2 v[17:18], v[13:14]
	s_waitcnt vmcnt(0) lgkmcnt(0)
	v_add_f64 v[7:8], v[11:12], -v[30:31]
	v_add_f64 v[51:52], v[17:18], v[17:18]
	v_cmp_ngt_f64_e64 s[12:13], |v[7:8]|, |v[51:52]|
	s_and_saveexec_b64 s[46:47], s[12:13]
	s_xor_b64 s[12:13], exec, s[46:47]
	s_cbranch_execz .LBB32_191
; %bb.186:                              ;   in Loop: Header=BB32_140 Depth=2
	v_cmp_nlt_f64_e64 s[46:47], |v[7:8]|, |v[51:52]|
                                        ; implicit-def: $vgpr19_vgpr20
	s_and_saveexec_b64 s[56:57], s[46:47]
	s_xor_b64 s[46:47], exec, s[56:57]
; %bb.187:                              ;   in Loop: Header=BB32_140 Depth=2
	v_mul_f64 v[19:20], |v[51:52]|, s[22:23]
; %bb.188:                              ;   in Loop: Header=BB32_140 Depth=2
	s_andn2_saveexec_b64 s[46:47], s[46:47]
	s_cbranch_execz .LBB32_190
; %bb.189:                              ;   in Loop: Header=BB32_140 Depth=2
	v_and_b32_e32 v14, 0x7fffffff, v8
	v_mov_b32_e32 v13, v7
	v_and_b32_e32 v20, 0x7fffffff, v52
	v_mov_b32_e32 v19, v51
	v_div_scale_f64 v[21:22], s[56:57], v[19:20], v[19:20], v[13:14]
	v_div_scale_f64 v[13:14], vcc, v[13:14], v[19:20], v[13:14]
	v_rcp_f64_e32 v[28:29], v[21:22]
	v_fma_f64 v[32:33], -v[21:22], v[28:29], 1.0
	v_fma_f64 v[28:29], v[28:29], v[32:33], v[28:29]
	v_fma_f64 v[19:20], -v[21:22], v[28:29], 1.0
	v_fma_f64 v[19:20], v[28:29], v[19:20], v[28:29]
	v_mul_f64 v[28:29], v[13:14], v[19:20]
	v_fma_f64 v[13:14], -v[21:22], v[28:29], v[13:14]
	v_div_fmas_f64 v[13:14], v[13:14], v[19:20], v[28:29]
	v_mov_b32_e32 v19, 0x100
	v_div_fixup_f64 v[13:14], v[13:14], |v[51:52]|, |v[7:8]|
	v_fma_f64 v[13:14], v[13:14], v[13:14], 1.0
	v_cmp_gt_f64_e32 vcc, s[20:21], v[13:14]
	v_cndmask_b32_e32 v19, 0, v19, vcc
	v_ldexp_f64 v[13:14], v[13:14], v19
	v_rsq_f64_e32 v[19:20], v[13:14]
	v_mul_f64 v[21:22], v[13:14], v[19:20]
	v_mul_f64 v[19:20], v[19:20], 0.5
	v_fma_f64 v[28:29], -v[19:20], v[21:22], 0.5
	v_fma_f64 v[21:22], v[21:22], v[28:29], v[21:22]
	v_fma_f64 v[19:20], v[19:20], v[28:29], v[19:20]
	v_fma_f64 v[28:29], -v[21:22], v[21:22], v[13:14]
	v_fma_f64 v[21:22], v[28:29], v[19:20], v[21:22]
	v_fma_f64 v[28:29], -v[21:22], v[21:22], v[13:14]
	v_fma_f64 v[19:20], v[28:29], v[19:20], v[21:22]
	v_mov_b32_e32 v21, 0xffffff80
	v_cndmask_b32_e32 v21, 0, v21, vcc
	v_ldexp_f64 v[19:20], v[19:20], v21
	v_mov_b32_e32 v21, 0x260
	v_cmp_class_f64_e32 vcc, v[13:14], v21
	v_cndmask_b32_e32 v14, v20, v14, vcc
	v_cndmask_b32_e32 v13, v19, v13, vcc
	v_mul_f64 v[19:20], |v[51:52]|, v[13:14]
.LBB32_190:                             ;   in Loop: Header=BB32_140 Depth=2
	s_or_b64 exec, exec, s[46:47]
.LBB32_191:                             ;   in Loop: Header=BB32_140 Depth=2
	s_andn2_saveexec_b64 s[12:13], s[12:13]
	s_cbranch_execz .LBB32_193
; %bb.192:                              ;   in Loop: Header=BB32_140 Depth=2
	v_and_b32_e32 v14, 0x7fffffff, v52
	v_mov_b32_e32 v13, v51
	v_and_b32_e32 v20, 0x7fffffff, v8
	v_mov_b32_e32 v19, v7
	v_div_scale_f64 v[21:22], s[46:47], v[19:20], v[19:20], v[13:14]
	v_div_scale_f64 v[13:14], vcc, v[13:14], v[19:20], v[13:14]
	v_rcp_f64_e32 v[28:29], v[21:22]
	v_fma_f64 v[32:33], -v[21:22], v[28:29], 1.0
	v_fma_f64 v[28:29], v[28:29], v[32:33], v[28:29]
	v_fma_f64 v[19:20], -v[21:22], v[28:29], 1.0
	v_fma_f64 v[19:20], v[28:29], v[19:20], v[28:29]
	v_mul_f64 v[28:29], v[13:14], v[19:20]
	v_fma_f64 v[13:14], -v[21:22], v[28:29], v[13:14]
	v_div_fmas_f64 v[13:14], v[13:14], v[19:20], v[28:29]
	v_mov_b32_e32 v19, 0x100
	v_div_fixup_f64 v[13:14], v[13:14], |v[7:8]|, |v[51:52]|
	v_fma_f64 v[13:14], v[13:14], v[13:14], 1.0
	v_cmp_gt_f64_e32 vcc, s[20:21], v[13:14]
	v_cndmask_b32_e32 v19, 0, v19, vcc
	v_ldexp_f64 v[13:14], v[13:14], v19
	v_rsq_f64_e32 v[19:20], v[13:14]
	v_mul_f64 v[21:22], v[13:14], v[19:20]
	v_mul_f64 v[19:20], v[19:20], 0.5
	v_fma_f64 v[28:29], -v[19:20], v[21:22], 0.5
	v_fma_f64 v[21:22], v[21:22], v[28:29], v[21:22]
	v_fma_f64 v[19:20], v[19:20], v[28:29], v[19:20]
	v_fma_f64 v[28:29], -v[21:22], v[21:22], v[13:14]
	v_fma_f64 v[21:22], v[28:29], v[19:20], v[21:22]
	v_fma_f64 v[28:29], -v[21:22], v[21:22], v[13:14]
	v_fma_f64 v[19:20], v[28:29], v[19:20], v[21:22]
	v_mov_b32_e32 v21, 0xffffff80
	v_cndmask_b32_e32 v21, 0, v21, vcc
	v_ldexp_f64 v[19:20], v[19:20], v21
	v_mov_b32_e32 v21, 0x260
	v_cmp_class_f64_e32 vcc, v[13:14], v21
	v_cndmask_b32_e32 v14, v20, v14, vcc
	v_cndmask_b32_e32 v13, v19, v13, vcc
	v_mul_f64 v[19:20], |v[7:8]|, v[13:14]
.LBB32_193:                             ;   in Loop: Header=BB32_140 Depth=2
	s_or_b64 exec, exec, s[12:13]
	v_add_f64 v[32:33], v[11:12], v[30:31]
	v_cmp_gt_f64_e64 vcc, |v[11:12]|, |v[30:31]|
	v_cndmask_b32_e32 v41, v12, v31, vcc
	v_cndmask_b32_e32 v40, v11, v30, vcc
	;; [unrolled: 1-line block ×4, first 2 shown]
	v_cmp_ngt_f64_e32 vcc, 0, v[32:33]
                                        ; implicit-def: $vgpr30_vgpr31
	s_and_saveexec_b64 s[12:13], vcc
	s_xor_b64 s[12:13], exec, s[12:13]
	s_cbranch_execz .LBB32_199
; %bb.194:                              ;   in Loop: Header=BB32_140 Depth=2
	v_cmp_nlt_f64_e32 vcc, 0, v[32:33]
                                        ; implicit-def: $vgpr30_vgpr31
	s_and_saveexec_b64 s[46:47], vcc
	s_xor_b64 s[46:47], exec, s[46:47]
	s_cbranch_execz .LBB32_196
; %bb.195:                              ;   in Loop: Header=BB32_140 Depth=2
	v_mul_f64 v[28:29], v[19:20], 0.5
	v_mul_f64 v[30:31], v[19:20], -0.5
                                        ; implicit-def: $vgpr32_vgpr33
                                        ; implicit-def: $vgpr11_vgpr12
                                        ; implicit-def: $vgpr17_vgpr18
                                        ; implicit-def: $vgpr40_vgpr41
.LBB32_196:                             ;   in Loop: Header=BB32_140 Depth=2
	s_andn2_saveexec_b64 s[46:47], s[46:47]
	s_cbranch_execz .LBB32_198
; %bb.197:                              ;   in Loop: Header=BB32_140 Depth=2
	v_add_f64 v[13:14], v[32:33], v[19:20]
	v_mul_f64 v[28:29], v[13:14], 0.5
	v_div_scale_f64 v[13:14], s[56:57], v[28:29], v[28:29], v[11:12]
	v_rcp_f64_e32 v[21:22], v[13:14]
	v_fma_f64 v[30:31], -v[13:14], v[21:22], 1.0
	v_fma_f64 v[21:22], v[21:22], v[30:31], v[21:22]
	v_fma_f64 v[30:31], -v[13:14], v[21:22], 1.0
	v_fma_f64 v[21:22], v[21:22], v[30:31], v[21:22]
	v_div_scale_f64 v[30:31], vcc, v[11:12], v[28:29], v[11:12]
	v_mul_f64 v[32:33], v[30:31], v[21:22]
	v_fma_f64 v[13:14], -v[13:14], v[32:33], v[30:31]
	s_nop 1
	v_div_fmas_f64 v[13:14], v[13:14], v[21:22], v[32:33]
	v_div_fixup_f64 v[11:12], v[13:14], v[28:29], v[11:12]
	v_div_scale_f64 v[13:14], s[56:57], v[28:29], v[28:29], v[17:18]
	v_rcp_f64_e32 v[21:22], v[13:14]
	v_fma_f64 v[30:31], -v[13:14], v[21:22], 1.0
	v_fma_f64 v[21:22], v[21:22], v[30:31], v[21:22]
	v_fma_f64 v[30:31], -v[13:14], v[21:22], 1.0
	v_fma_f64 v[21:22], v[21:22], v[30:31], v[21:22]
	v_div_scale_f64 v[30:31], vcc, v[17:18], v[28:29], v[17:18]
	v_mul_f64 v[32:33], v[30:31], v[21:22]
	v_fma_f64 v[13:14], -v[13:14], v[32:33], v[30:31]
	s_nop 1
	v_div_fmas_f64 v[13:14], v[13:14], v[21:22], v[32:33]
	v_div_fixup_f64 v[13:14], v[13:14], v[28:29], v[17:18]
	v_mul_f64 v[13:14], v[17:18], v[13:14]
	v_fma_f64 v[30:31], v[40:41], v[11:12], -v[13:14]
.LBB32_198:                             ;   in Loop: Header=BB32_140 Depth=2
	s_or_b64 exec, exec, s[46:47]
                                        ; implicit-def: $vgpr32_vgpr33
                                        ; implicit-def: $vgpr11_vgpr12
                                        ; implicit-def: $vgpr17_vgpr18
                                        ; implicit-def: $vgpr40_vgpr41
.LBB32_199:                             ;   in Loop: Header=BB32_140 Depth=2
	s_or_saveexec_b64 s[12:13], s[12:13]
	v_mov_b32_e32 v13, 1
	s_xor_b64 exec, exec, s[12:13]
	s_cbranch_execz .LBB32_201
; %bb.200:                              ;   in Loop: Header=BB32_140 Depth=2
	v_add_f64 v[13:14], v[32:33], -v[19:20]
	v_mul_f64 v[28:29], v[13:14], 0.5
	v_div_scale_f64 v[13:14], s[46:47], v[28:29], v[28:29], v[11:12]
	v_rcp_f64_e32 v[21:22], v[13:14]
	v_fma_f64 v[30:31], -v[13:14], v[21:22], 1.0
	v_fma_f64 v[21:22], v[21:22], v[30:31], v[21:22]
	v_fma_f64 v[30:31], -v[13:14], v[21:22], 1.0
	v_fma_f64 v[21:22], v[21:22], v[30:31], v[21:22]
	v_div_scale_f64 v[30:31], vcc, v[11:12], v[28:29], v[11:12]
	v_mul_f64 v[32:33], v[30:31], v[21:22]
	v_fma_f64 v[13:14], -v[13:14], v[32:33], v[30:31]
	s_nop 1
	v_div_fmas_f64 v[13:14], v[13:14], v[21:22], v[32:33]
	v_div_fixup_f64 v[11:12], v[13:14], v[28:29], v[11:12]
	v_div_scale_f64 v[13:14], s[46:47], v[28:29], v[28:29], v[17:18]
	v_rcp_f64_e32 v[21:22], v[13:14]
	v_fma_f64 v[30:31], -v[13:14], v[21:22], 1.0
	v_fma_f64 v[21:22], v[21:22], v[30:31], v[21:22]
	v_fma_f64 v[30:31], -v[13:14], v[21:22], 1.0
	v_fma_f64 v[21:22], v[21:22], v[30:31], v[21:22]
	v_div_scale_f64 v[30:31], vcc, v[17:18], v[28:29], v[17:18]
	v_mul_f64 v[32:33], v[30:31], v[21:22]
	v_fma_f64 v[13:14], -v[13:14], v[32:33], v[30:31]
	s_nop 1
	v_div_fmas_f64 v[13:14], v[13:14], v[21:22], v[32:33]
	v_div_fixup_f64 v[13:14], v[13:14], v[28:29], v[17:18]
	v_mul_f64 v[13:14], v[17:18], v[13:14]
	v_fma_f64 v[30:31], v[40:41], v[11:12], -v[13:14]
	v_mov_b32_e32 v13, -1
.LBB32_201:                             ;   in Loop: Header=BB32_140 Depth=2
	s_or_b64 exec, exec, s[12:13]
	v_cmp_nle_f64_e64 s[12:13], 0, v[7:8]
	v_xor_b32_e32 v11, 0x80000000, v20
                                        ; implicit-def: $vgpr17_vgpr18
	v_cndmask_b32_e64 v20, v20, v11, s[12:13]
	v_add_f64 v[7:8], v[7:8], v[19:20]
                                        ; implicit-def: $vgpr11_vgpr12
	v_cmp_ngt_f64_e64 s[46:47], |v[7:8]|, |v[51:52]|
	s_and_saveexec_b64 s[56:57], s[46:47]
	s_xor_b64 s[46:47], exec, s[56:57]
	s_cbranch_execz .LBB32_205
; %bb.202:                              ;   in Loop: Header=BB32_140 Depth=2
	v_cmp_neq_f64_e32 vcc, 0, v[51:52]
	v_mov_b32_e32 v11, 0
	v_mov_b32_e32 v17, 0
	;; [unrolled: 1-line block ×4, first 2 shown]
	s_and_saveexec_b64 s[56:57], vcc
	s_cbranch_execz .LBB32_204
; %bb.203:                              ;   in Loop: Header=BB32_140 Depth=2
	v_div_scale_f64 v[11:12], s[58:59], v[51:52], v[51:52], -v[7:8]
	v_mov_b32_e32 v14, 0x100
	v_rcp_f64_e32 v[17:18], v[11:12]
	v_fma_f64 v[19:20], -v[11:12], v[17:18], 1.0
	v_fma_f64 v[17:18], v[17:18], v[19:20], v[17:18]
	v_div_scale_f64 v[19:20], vcc, -v[7:8], v[51:52], -v[7:8]
	v_fma_f64 v[21:22], -v[11:12], v[17:18], 1.0
	v_fma_f64 v[17:18], v[17:18], v[21:22], v[17:18]
	v_mul_f64 v[21:22], v[19:20], v[17:18]
	v_fma_f64 v[11:12], -v[11:12], v[21:22], v[19:20]
	v_div_fmas_f64 v[11:12], v[11:12], v[17:18], v[21:22]
	v_div_fixup_f64 v[7:8], v[11:12], v[51:52], -v[7:8]
	v_fma_f64 v[11:12], v[7:8], v[7:8], 1.0
	v_cmp_gt_f64_e32 vcc, s[20:21], v[11:12]
	v_cndmask_b32_e32 v14, 0, v14, vcc
	v_ldexp_f64 v[11:12], v[11:12], v14
	v_mov_b32_e32 v14, 0xffffff80
	v_cndmask_b32_e32 v14, 0, v14, vcc
	v_rsq_f64_e32 v[17:18], v[11:12]
	v_mul_f64 v[19:20], v[11:12], v[17:18]
	v_mul_f64 v[17:18], v[17:18], 0.5
	v_fma_f64 v[21:22], -v[17:18], v[19:20], 0.5
	v_fma_f64 v[19:20], v[19:20], v[21:22], v[19:20]
	v_fma_f64 v[17:18], v[17:18], v[21:22], v[17:18]
	v_fma_f64 v[21:22], -v[19:20], v[19:20], v[11:12]
	v_fma_f64 v[19:20], v[21:22], v[17:18], v[19:20]
	v_fma_f64 v[21:22], -v[19:20], v[19:20], v[11:12]
	v_fma_f64 v[17:18], v[21:22], v[17:18], v[19:20]
	v_ldexp_f64 v[17:18], v[17:18], v14
	v_mov_b32_e32 v14, 0x260
	v_cmp_class_f64_e32 vcc, v[11:12], v14
	v_cndmask_b32_e32 v12, v18, v12, vcc
	v_cndmask_b32_e32 v11, v17, v11, vcc
	v_div_scale_f64 v[17:18], s[58:59], v[11:12], v[11:12], 1.0
	v_div_scale_f64 v[32:33], vcc, 1.0, v[11:12], 1.0
	v_rcp_f64_e32 v[19:20], v[17:18]
	v_fma_f64 v[21:22], -v[17:18], v[19:20], 1.0
	v_fma_f64 v[19:20], v[19:20], v[21:22], v[19:20]
	v_fma_f64 v[21:22], -v[17:18], v[19:20], 1.0
	v_fma_f64 v[19:20], v[19:20], v[21:22], v[19:20]
	v_mul_f64 v[21:22], v[32:33], v[19:20]
	v_fma_f64 v[17:18], -v[17:18], v[21:22], v[32:33]
	v_div_fmas_f64 v[17:18], v[17:18], v[19:20], v[21:22]
	v_div_fixup_f64 v[17:18], v[17:18], v[11:12], 1.0
	v_mul_f64 v[11:12], v[7:8], v[17:18]
.LBB32_204:                             ;   in Loop: Header=BB32_140 Depth=2
	s_or_b64 exec, exec, s[56:57]
                                        ; implicit-def: $vgpr7_vgpr8
                                        ; implicit-def: $vgpr51_vgpr52
.LBB32_205:                             ;   in Loop: Header=BB32_140 Depth=2
	s_andn2_saveexec_b64 s[46:47], s[46:47]
	s_cbranch_execz .LBB32_207
; %bb.206:                              ;   in Loop: Header=BB32_140 Depth=2
	v_div_scale_f64 v[11:12], s[56:57], v[7:8], v[7:8], -v[51:52]
	v_mov_b32_e32 v14, 0x100
	v_rcp_f64_e32 v[17:18], v[11:12]
	v_fma_f64 v[19:20], -v[11:12], v[17:18], 1.0
	v_fma_f64 v[17:18], v[17:18], v[19:20], v[17:18]
	v_div_scale_f64 v[19:20], vcc, -v[51:52], v[7:8], -v[51:52]
	v_fma_f64 v[21:22], -v[11:12], v[17:18], 1.0
	v_fma_f64 v[17:18], v[17:18], v[21:22], v[17:18]
	v_mul_f64 v[21:22], v[19:20], v[17:18]
	v_fma_f64 v[11:12], -v[11:12], v[21:22], v[19:20]
	v_div_fmas_f64 v[11:12], v[11:12], v[17:18], v[21:22]
	v_div_fixup_f64 v[7:8], v[11:12], v[7:8], -v[51:52]
	v_fma_f64 v[11:12], v[7:8], v[7:8], 1.0
	v_cmp_gt_f64_e32 vcc, s[20:21], v[11:12]
	v_cndmask_b32_e32 v14, 0, v14, vcc
	v_ldexp_f64 v[11:12], v[11:12], v14
	v_mov_b32_e32 v14, 0xffffff80
	v_cndmask_b32_e32 v14, 0, v14, vcc
	v_rsq_f64_e32 v[17:18], v[11:12]
	v_mul_f64 v[19:20], v[11:12], v[17:18]
	v_mul_f64 v[17:18], v[17:18], 0.5
	v_fma_f64 v[21:22], -v[17:18], v[19:20], 0.5
	v_fma_f64 v[19:20], v[19:20], v[21:22], v[19:20]
	v_fma_f64 v[17:18], v[17:18], v[21:22], v[17:18]
	v_fma_f64 v[21:22], -v[19:20], v[19:20], v[11:12]
	v_fma_f64 v[19:20], v[21:22], v[17:18], v[19:20]
	v_fma_f64 v[21:22], -v[19:20], v[19:20], v[11:12]
	v_fma_f64 v[17:18], v[21:22], v[17:18], v[19:20]
	v_ldexp_f64 v[17:18], v[17:18], v14
	v_mov_b32_e32 v14, 0x260
	v_cmp_class_f64_e32 vcc, v[11:12], v14
	v_cndmask_b32_e32 v12, v18, v12, vcc
	v_cndmask_b32_e32 v11, v17, v11, vcc
	v_div_scale_f64 v[17:18], s[56:57], v[11:12], v[11:12], 1.0
	v_div_scale_f64 v[32:33], vcc, 1.0, v[11:12], 1.0
	v_rcp_f64_e32 v[19:20], v[17:18]
	v_fma_f64 v[21:22], -v[17:18], v[19:20], 1.0
	v_fma_f64 v[19:20], v[19:20], v[21:22], v[19:20]
	v_fma_f64 v[21:22], -v[17:18], v[19:20], 1.0
	v_fma_f64 v[19:20], v[19:20], v[21:22], v[19:20]
	v_mul_f64 v[21:22], v[32:33], v[19:20]
	v_fma_f64 v[17:18], -v[17:18], v[21:22], v[32:33]
	v_div_fmas_f64 v[17:18], v[17:18], v[19:20], v[21:22]
	v_div_fixup_f64 v[11:12], v[17:18], v[11:12], 1.0
	v_mul_f64 v[17:18], v[7:8], v[11:12]
.LBB32_207:                             ;   in Loop: Header=BB32_140 Depth=2
	s_or_b64 exec, exec, s[46:47]
	v_cndmask_b32_e64 v7, 1, -1, s[12:13]
	v_cmp_eq_u32_e32 vcc, v13, v7
	buffer_load_dword v13, off, s[0:3], s32 offset:140 ; 4-byte Folded Reload
	buffer_load_dword v14, off, s[0:3], s32 offset:136 ; 4-byte Folded Reload
	v_xor_b32_e32 v8, 0x80000000, v12
	v_cndmask_b32_e32 v8, v18, v8, vcc
	v_cndmask_b32_e32 v7, v17, v11, vcc
	;; [unrolled: 1-line block ×4, first 2 shown]
	s_waitcnt vmcnt(1)
	v_add_co_u32_e32 v13, vcc, v13, v54
	s_waitcnt vmcnt(0)
	v_addc_co_u32_e32 v14, vcc, v14, v55, vcc
	flat_store_dwordx2 v[13:14], v[7:8]
	buffer_load_dword v7, off, s[0:3], s32 offset:104 ; 4-byte Folded Reload
	s_nop 0
	buffer_load_dword v8, off, s[0:3], s32 offset:108 ; 4-byte Folded Reload
	s_waitcnt vmcnt(0)
	v_add_co_u32_e32 v7, vcc, v13, v7
	v_addc_co_u32_e32 v8, vcc, v14, v8, vcc
	flat_store_dwordx2 v[7:8], v[11:12]
	v_add_co_u32_e32 v7, vcc, -8, v61
	v_addc_co_u32_e32 v8, vcc, -1, v62, vcc
	flat_store_dwordx4 v[7:8], v[28:31]
	buffer_load_dword v11, off, s[0:3], s32 offset:92 ; 4-byte Folded Reload
	buffer_load_dword v12, off, s[0:3], s32 offset:96 ; 4-byte Folded Reload
	v_add_co_u32_e32 v7, vcc, v5, v26
	v_addc_co_u32_e32 v8, vcc, v6, v27, vcc
	v_add_co_u32_e32 v7, vcc, -8, v7
	v_addc_co_u32_e32 v8, vcc, -1, v8, vcc
	s_waitcnt vmcnt(0)
	v_mov_b32_e32 v12, v11
	v_mov_b32_e32 v13, v11
	buffer_store_dword v11, off, s[0:3], s32 offset:92 ; 4-byte Folded Spill
	s_nop 0
	buffer_store_dword v12, off, s[0:3], s32 offset:96 ; 4-byte Folded Spill
	flat_store_dwordx2 v[7:8], v[12:13]
	v_add_u32_e32 v7, -2, v60
	ds_write_b32 v1, v7
	s_or_b64 exec, exec, s[44:45]
                                        ; implicit-def: $vgpr61_vgpr62
                                        ; implicit-def: $vgpr30_vgpr31
                                        ; implicit-def: $vgpr7
.LBB32_208:                             ;   in Loop: Header=BB32_140 Depth=2
	s_andn2_saveexec_b64 s[12:13], s[42:43]
	s_cbranch_execz .LBB32_210
.LBB32_209:                             ;   in Loop: Header=BB32_140 Depth=2
	flat_store_dwordx2 v[61:62], v[30:31]
	ds_write_b32 v1, v7
.LBB32_210:                             ;   in Loop: Header=BB32_140 Depth=2
	s_or_b64 exec, exec, s[12:13]
.LBB32_211:                             ;   in Loop: Header=BB32_140 Depth=2
	s_or_b64 exec, exec, s[40:41]
	s_waitcnt vmcnt(0) lgkmcnt(0)
	s_barrier
	ds_read_b32 v60, v50
	ds_read_b32 v7, v1
	s_waitcnt lgkmcnt(0)
	v_cmp_ne_u32_e32 vcc, v60, v7
	s_and_saveexec_b64 s[40:41], vcc
	s_cbranch_execz .LBB32_139
; %bb.212:                              ;   in Loop: Header=BB32_140 Depth=2
	s_and_saveexec_b64 s[42:43], s[10:11]
	s_cbranch_execz .LBB32_138
; %bb.213:                              ;   in Loop: Header=BB32_140 Depth=2
	buffer_load_dword v7, off, s[0:3], s32 offset:64 ; 4-byte Folded Reload
	buffer_load_dword v8, off, s[0:3], s32 offset:68 ; 4-byte Folded Reload
	;; [unrolled: 1-line block ×4, first 2 shown]
	v_ashrrev_i32_e32 v61, 31, v60
	s_mov_b64 s[44:45], 0
	buffer_load_dword v17, off, s[0:3], s32 offset:160 ; 4-byte Folded Reload
	s_waitcnt vmcnt(3)
	global_load_dword v7, v[7:8], off offset:16
	s_waitcnt vmcnt(0)
	ds_read_b32 v7, v7
	s_waitcnt lgkmcnt(0)
	v_sub_u32_e32 v13, v7, v60
	v_lshlrev_b64 v[7:8], 3, v[60:61]
	v_add_co_u32_e32 v7, vcc, v11, v7
	buffer_load_dword v11, off, s[0:3], s32 offset:136 ; 4-byte Folded Reload
	s_waitcnt vmcnt(0)
	v_addc_co_u32_e32 v8, vcc, v11, v8, vcc
	v_mul_lo_u32 v11, v60, v9
	v_ashrrev_i32_e32 v12, 31, v11
	v_lshlrev_b64 v[11:12], 3, v[11:12]
	v_add_co_u32_e32 v14, vcc, v14, v11
	v_addc_co_u32_e32 v20, vcc, v17, v12, vcc
	v_mad_i64_i32 v[17:18], s[12:13], v13, v9, 0
	v_cmp_lt_i32_e32 vcc, 0, v13
	v_lshlrev_b64 v[17:18], 3, v[17:18]
	v_add_co_u32_e64 v32, s[12:13], v14, v17
	buffer_load_dword v17, off, s[0:3], s32 offset:168 ; 4-byte Folded Reload
	v_addc_co_u32_e64 v33, s[12:13], v20, v18, s[12:13]
	s_waitcnt vmcnt(0)
	v_add_co_u32_e64 v11, s[12:13], v17, v11
	buffer_load_dword v17, off, s[0:3], s32 offset:172 ; 4-byte Folded Reload
	s_waitcnt vmcnt(0)
	v_addc_co_u32_e64 v12, s[12:13], v17, v12, s[12:13]
	buffer_load_dword v17, off, s[0:3], s32 offset:128 ; 4-byte Folded Reload
	buffer_load_dword v18, off, s[0:3], s32 offset:132 ; 4-byte Folded Reload
	s_branch .LBB32_215
.LBB32_214:                             ;   in Loop: Header=BB32_215 Depth=3
	s_or_b64 exec, exec, s[46:47]
	v_add_co_u32_e64 v18, s[12:13], v32, v18
	v_addc_co_u32_e64 v19, s[12:13], v33, v19, s[12:13]
	v_add_u32_e32 v17, v17, v24
	v_cmp_ge_i32_e64 s[12:13], v17, v2
	s_or_b64 s[44:45], s[12:13], s[44:45]
	v_add_co_u32_e64 v11, s[12:13], v11, v36
	v_addc_co_u32_e64 v12, s[12:13], v12, v37, s[12:13]
	s_waitcnt vmcnt(0) lgkmcnt(0)
	flat_store_dwordx2 v[18:19], v[26:27]
	s_andn2_b64 exec, exec, s[44:45]
	s_cbranch_execz .LBB32_138
.LBB32_215:                             ;   Parent Loop BB32_8 Depth=1
                                        ;     Parent Loop BB32_140 Depth=2
                                        ; =>    This Loop Header: Depth=3
                                        ;         Child Loop BB32_217 Depth 4
	s_waitcnt vmcnt(0)
	v_ashrrev_i32_e32 v18, 31, v17
	v_lshlrev_b64 v[18:19], 3, v[17:18]
	v_add_co_u32_e64 v21, s[12:13], v14, v18
	v_addc_co_u32_e64 v22, s[12:13], v20, v19, s[12:13]
	flat_load_dwordx2 v[26:27], v[21:22]
	s_and_saveexec_b64 s[46:47], vcc
	s_cbranch_execz .LBB32_214
; %bb.216:                              ;   in Loop: Header=BB32_215 Depth=3
	v_mov_b32_e32 v29, v8
	v_mov_b32_e32 v31, v12
	s_mov_b64 s[56:57], 0
	v_mov_b32_e32 v28, v7
	v_mov_b32_e32 v30, v11
	v_mov_b32_e32 v38, v13
.LBB32_217:                             ;   Parent Loop BB32_8 Depth=1
                                        ;     Parent Loop BB32_140 Depth=2
                                        ;       Parent Loop BB32_215 Depth=3
                                        ; =>      This Inner Loop Header: Depth=4
	v_add_co_u32_e64 v21, s[12:13], v28, v3
	v_addc_co_u32_e64 v22, s[12:13], v29, v15, s[12:13]
	v_add_co_u32_e64 v50, s[12:13], v30, v48
	v_addc_co_u32_e64 v51, s[12:13], v31, v49, s[12:13]
	flat_load_dwordx2 v[54:55], v[50:51]
	s_nop 0
	flat_load_dwordx2 v[21:22], v[21:22]
	s_nop 0
	flat_load_dwordx2 v[39:40], v[28:29]
	v_add_co_u32_e64 v28, s[12:13], 8, v28
	v_add_u32_e32 v38, -1, v38
	v_addc_co_u32_e64 v29, s[12:13], 0, v29, s[12:13]
	v_cmp_eq_u32_e64 s[12:13], 0, v38
	s_or_b64 s[56:57], s[12:13], s[56:57]
	s_waitcnt vmcnt(0) lgkmcnt(0)
	v_mul_f64 v[41:42], v[21:22], v[54:55]
	v_mul_f64 v[21:22], v[26:27], v[21:22]
	v_fma_f64 v[41:42], v[26:27], v[39:40], v[41:42]
	v_fma_f64 v[26:27], v[39:40], v[54:55], -v[21:22]
	flat_store_dwordx2 v[30:31], v[41:42]
	v_mov_b32_e32 v30, v50
	v_mov_b32_e32 v31, v51
	s_andn2_b64 exec, exec, s[56:57]
	s_cbranch_execnz .LBB32_217
; %bb.218:                              ;   in Loop: Header=BB32_215 Depth=3
	s_or_b64 exec, exec, s[56:57]
	s_branch .LBB32_214
.LBB32_219:                             ;   in Loop: Header=BB32_140 Depth=2
	s_or_b64 exec, exec, s[44:45]
                                        ; implicit-def: $vgpr61_vgpr62
                                        ; implicit-def: $vgpr30_vgpr31
                                        ; implicit-def: $vgpr7
	s_andn2_saveexec_b64 s[12:13], s[42:43]
	s_cbranch_execnz .LBB32_209
	s_branch .LBB32_210
.LBB32_220:                             ;   in Loop: Header=BB32_8 Depth=1
	s_or_b64 exec, exec, s[28:29]
.LBB32_221:                             ;   in Loop: Header=BB32_8 Depth=1
	s_or_b64 exec, exec, s[26:27]
.LBB32_222:                             ;   in Loop: Header=BB32_8 Depth=1
	s_or_b64 exec, exec, s[14:15]
	s_barrier
	buffer_load_dword v7, off, s[0:3], s32 offset:72 ; 4-byte Folded Reload
	buffer_load_dword v8, off, s[0:3], s32 offset:76 ; 4-byte Folded Reload
	s_waitcnt vmcnt(0)
	ds_read_b64 v[7:8], v8
	buffer_load_dword v11, off, s[0:3], s32 offset:176 ; 4-byte Folded Reload
	buffer_load_dword v12, off, s[0:3], s32 offset:180 ; 4-byte Folded Reload
	s_waitcnt vmcnt(0) lgkmcnt(0)
	v_cmp_gt_f64_e32 vcc, v[7:8], v[11:12]
	s_and_saveexec_b64 s[12:13], vcc
	s_cbranch_execz .LBB32_228
; %bb.223:                              ;   in Loop: Header=BB32_8 Depth=1
	buffer_load_dword v26, off, s[0:3], s32 offset:176 ; 4-byte Folded Reload
	buffer_load_dword v27, off, s[0:3], s32 offset:180 ; 4-byte Folded Reload
	;; [unrolled: 1-line block ×4, first 2 shown]
	s_waitcnt vmcnt(0)
	global_load_dword v1, v[17:18], off offset:16
	global_load_dword v21, v[17:18], off offset:32
	v_div_scale_f64 v[11:12], s[14:15], v[7:8], v[7:8], v[26:27]
	v_div_scale_f64 v[19:20], vcc, v[26:27], v[7:8], v[26:27]
	v_rcp_f64_e32 v[13:14], v[11:12]
	v_fma_f64 v[17:18], -v[11:12], v[13:14], 1.0
	v_fma_f64 v[13:14], v[13:14], v[17:18], v[13:14]
	v_fma_f64 v[17:18], -v[11:12], v[13:14], 1.0
	v_fma_f64 v[13:14], v[13:14], v[17:18], v[13:14]
	v_mul_f64 v[17:18], v[19:20], v[13:14]
	v_fma_f64 v[11:12], -v[11:12], v[17:18], v[19:20]
	v_div_fmas_f64 v[11:12], v[11:12], v[13:14], v[17:18]
	v_div_fixup_f64 v[7:8], v[11:12], v[7:8], v[26:27]
	s_waitcnt vmcnt(1)
	ds_read_b32 v1, v1
	s_waitcnt vmcnt(0)
	ds_read_b32 v11, v21
	s_and_saveexec_b64 s[14:15], s[8:9]
	s_cbranch_execz .LBB32_225
; %bb.224:                              ;   in Loop: Header=BB32_8 Depth=1
	s_waitcnt lgkmcnt(0)
	v_ashrrev_i32_e32 v12, 31, v11
	v_lshlrev_b64 v[12:13], 3, v[11:12]
	v_add_co_u32_e32 v12, vcc, v23, v12
	v_addc_co_u32_e32 v13, vcc, v4, v13, vcc
	flat_load_dwordx2 v[17:18], v[12:13]
	s_waitcnt vmcnt(0) lgkmcnt(0)
	v_mul_f64 v[17:18], v[7:8], v[17:18]
	flat_store_dwordx2 v[12:13], v[17:18]
.LBB32_225:                             ;   in Loop: Header=BB32_8 Depth=1
	s_or_b64 exec, exec, s[14:15]
	buffer_load_dword v12, off, s[0:3], s32 offset:128 ; 4-byte Folded Reload
	buffer_load_dword v13, off, s[0:3], s32 offset:132 ; 4-byte Folded Reload
	s_waitcnt vmcnt(0) lgkmcnt(0)
	v_add_u32_e32 v17, v1, v12
	v_cmp_lt_i32_e32 vcc, v17, v11
	s_and_b64 exec, exec, vcc
	s_cbranch_execz .LBB32_228
; %bb.226:                              ;   in Loop: Header=BB32_8 Depth=1
	v_ashrrev_i32_e32 v18, 31, v17
	v_lshlrev_b64 v[12:13], 3, v[17:18]
	s_mov_b64 s[14:15], 0
.LBB32_227:                             ;   Parent Loop BB32_8 Depth=1
                                        ; =>  This Inner Loop Header: Depth=2
	v_add_co_u32_e32 v18, vcc, v23, v12
	v_addc_co_u32_e32 v19, vcc, v4, v13, vcc
	flat_load_dwordx2 v[20:21], v[18:19]
	v_add_co_u32_e32 v26, vcc, v5, v12
	v_addc_co_u32_e32 v27, vcc, v6, v13, vcc
	v_add_co_u32_e32 v12, vcc, v12, v36
	v_add_u32_e32 v17, v17, v24
	v_addc_co_u32_e32 v13, vcc, v13, v37, vcc
	v_cmp_ge_i32_e32 vcc, v17, v11
	s_or_b64 s[14:15], vcc, s[14:15]
	s_waitcnt vmcnt(0) lgkmcnt(0)
	v_mul_f64 v[20:21], v[7:8], v[20:21]
	flat_store_dwordx2 v[18:19], v[20:21]
	flat_load_dwordx2 v[18:19], v[26:27]
	s_waitcnt vmcnt(0) lgkmcnt(0)
	v_mul_f64 v[18:19], v[7:8], v[18:19]
	flat_store_dwordx2 v[26:27], v[18:19]
	s_andn2_b64 exec, exec, s[14:15]
	s_cbranch_execnz .LBB32_227
.LBB32_228:                             ;   in Loop: Header=BB32_8 Depth=1
	s_or_b64 exec, exec, s[12:13]
	buffer_load_dword v7, off, s[0:3], s32 offset:72 ; 4-byte Folded Reload
	buffer_load_dword v8, off, s[0:3], s32 offset:76 ; 4-byte Folded Reload
	s_waitcnt vmcnt(0)
	ds_read_b64 v[7:8], v8
	buffer_load_dword v11, off, s[0:3], s32 offset:188 ; 4-byte Folded Reload
	buffer_load_dword v12, off, s[0:3], s32 offset:192 ; 4-byte Folded Reload
	s_waitcnt vmcnt(0) lgkmcnt(0)
	v_cmp_lt_f64_e32 vcc, v[7:8], v[11:12]
	s_and_saveexec_b64 s[12:13], vcc
	s_cbranch_execz .LBB32_6
; %bb.229:                              ;   in Loop: Header=BB32_8 Depth=1
	buffer_load_dword v26, off, s[0:3], s32 offset:188 ; 4-byte Folded Reload
	buffer_load_dword v27, off, s[0:3], s32 offset:192 ; 4-byte Folded Reload
	;; [unrolled: 1-line block ×4, first 2 shown]
	s_waitcnt vmcnt(0)
	global_load_dword v1, v[17:18], off offset:16
	global_load_dword v21, v[17:18], off offset:32
	v_div_scale_f64 v[11:12], s[14:15], v[7:8], v[7:8], v[26:27]
	v_div_scale_f64 v[19:20], vcc, v[26:27], v[7:8], v[26:27]
	v_rcp_f64_e32 v[13:14], v[11:12]
	v_fma_f64 v[17:18], -v[11:12], v[13:14], 1.0
	v_fma_f64 v[13:14], v[13:14], v[17:18], v[13:14]
	v_fma_f64 v[17:18], -v[11:12], v[13:14], 1.0
	v_fma_f64 v[13:14], v[13:14], v[17:18], v[13:14]
	v_mul_f64 v[17:18], v[19:20], v[13:14]
	v_fma_f64 v[11:12], -v[11:12], v[17:18], v[19:20]
	v_div_fmas_f64 v[11:12], v[11:12], v[13:14], v[17:18]
	v_div_fixup_f64 v[7:8], v[11:12], v[7:8], v[26:27]
	s_waitcnt vmcnt(1)
	ds_read_b32 v1, v1
	s_waitcnt vmcnt(0)
	ds_read_b32 v11, v21
	s_and_saveexec_b64 s[14:15], s[8:9]
	s_cbranch_execz .LBB32_231
; %bb.230:                              ;   in Loop: Header=BB32_8 Depth=1
	s_waitcnt lgkmcnt(0)
	v_ashrrev_i32_e32 v12, 31, v11
	v_lshlrev_b64 v[12:13], 3, v[11:12]
	v_add_co_u32_e32 v12, vcc, v23, v12
	v_addc_co_u32_e32 v13, vcc, v4, v13, vcc
	flat_load_dwordx2 v[17:18], v[12:13]
	s_waitcnt vmcnt(0) lgkmcnt(0)
	v_mul_f64 v[17:18], v[7:8], v[17:18]
	flat_store_dwordx2 v[12:13], v[17:18]
.LBB32_231:                             ;   in Loop: Header=BB32_8 Depth=1
	s_or_b64 exec, exec, s[14:15]
	buffer_load_dword v12, off, s[0:3], s32 offset:128 ; 4-byte Folded Reload
	buffer_load_dword v13, off, s[0:3], s32 offset:132 ; 4-byte Folded Reload
	s_waitcnt vmcnt(0) lgkmcnt(0)
	v_add_u32_e32 v17, v1, v12
	v_cmp_lt_i32_e32 vcc, v17, v11
	s_and_b64 exec, exec, vcc
	s_cbranch_execz .LBB32_6
; %bb.232:                              ;   in Loop: Header=BB32_8 Depth=1
	v_ashrrev_i32_e32 v18, 31, v17
	v_lshlrev_b64 v[12:13], 3, v[17:18]
	s_mov_b64 s[14:15], 0
.LBB32_233:                             ;   Parent Loop BB32_8 Depth=1
                                        ; =>  This Inner Loop Header: Depth=2
	v_add_co_u32_e32 v18, vcc, v23, v12
	v_addc_co_u32_e32 v19, vcc, v4, v13, vcc
	flat_load_dwordx2 v[20:21], v[18:19]
	v_add_co_u32_e32 v26, vcc, v5, v12
	v_addc_co_u32_e32 v27, vcc, v6, v13, vcc
	v_add_co_u32_e32 v12, vcc, v12, v36
	v_add_u32_e32 v17, v17, v24
	v_addc_co_u32_e32 v13, vcc, v13, v37, vcc
	v_cmp_ge_i32_e32 vcc, v17, v11
	s_or_b64 s[14:15], vcc, s[14:15]
	s_waitcnt vmcnt(0) lgkmcnt(0)
	v_mul_f64 v[20:21], v[7:8], v[20:21]
	flat_store_dwordx2 v[18:19], v[20:21]
	flat_load_dwordx2 v[18:19], v[26:27]
	s_waitcnt vmcnt(0) lgkmcnt(0)
	v_mul_f64 v[18:19], v[7:8], v[18:19]
	flat_store_dwordx2 v[26:27], v[18:19]
	s_andn2_b64 exec, exec, s[14:15]
	s_cbranch_execnz .LBB32_233
	s_branch .LBB32_6
.LBB32_234:
	s_or_b64 exec, exec, s[16:17]
	buffer_load_dword v0, off, s[0:3], s32 offset:128 ; 4-byte Folded Reload
	buffer_load_dword v1, off, s[0:3], s32 offset:132 ; 4-byte Folded Reload
	;; [unrolled: 1-line block ×4, first 2 shown]
	s_waitcnt vmcnt(1)
	v_cmp_lt_i32_e32 vcc, v0, v7
	s_mov_b64 s[8:9], exec
	buffer_load_dword v12, off, s[0:3], s32 offset:232 ; 4-byte Folded Reload
	buffer_load_dword v13, off, s[0:3], s32 offset:236 ; 4-byte Folded Reload
	s_and_b64 s[10:11], s[8:9], vcc
	s_mov_b64 exec, s[10:11]
	s_cbranch_execz .LBB32_239
; %bb.235:
	buffer_load_dword v0, off, s[0:3], s32 offset:128 ; 4-byte Folded Reload
	buffer_load_dword v1, off, s[0:3], s32 offset:132 ; 4-byte Folded Reload
	s_waitcnt vmcnt(4)
	v_lshlrev_b64 v[7:8], 3, v[24:25]
	s_mov_b64 s[10:11], 0
	s_waitcnt vmcnt(0)
	v_lshlrev_b64 v[0:1], 3, v[0:1]
	v_add_co_u32_e32 v5, vcc, v5, v0
	v_addc_co_u32_e32 v6, vcc, v6, v1, vcc
	v_mov_b32_e32 v0, 1
	s_branch .LBB32_237
.LBB32_236:                             ;   in Loop: Header=BB32_237 Depth=1
	s_or_b64 exec, exec, s[12:13]
	buffer_load_dword v10, off, s[0:3], s32 offset:128 ; 4-byte Folded Reload
	buffer_load_dword v11, off, s[0:3], s32 offset:132 ; 4-byte Folded Reload
	s_waitcnt vmcnt(0)
	v_mov_b32_e32 v3, v10
	v_add_u32_e32 v3, v3, v24
	v_mov_b32_e32 v1, v3
	buffer_store_dword v1, off, s[0:3], s32 offset:128 ; 4-byte Folded Spill
	s_nop 0
	buffer_store_dword v2, off, s[0:3], s32 offset:132 ; 4-byte Folded Spill
	buffer_load_dword v10, off, s[0:3], s32 offset:120 ; 4-byte Folded Reload
	buffer_load_dword v11, off, s[0:3], s32 offset:124 ; 4-byte Folded Reload
	s_waitcnt vmcnt(0)
	v_cmp_ge_i32_e32 vcc, v3, v10
	s_or_b64 s[10:11], vcc, s[10:11]
	v_add_co_u32_e32 v5, vcc, v5, v7
	v_addc_co_u32_e32 v6, vcc, v6, v8, vcc
	s_andn2_b64 exec, exec, s[10:11]
	s_cbranch_execz .LBB32_239
.LBB32_237:                             ; =>This Inner Loop Header: Depth=1
	flat_load_dwordx2 v[10:11], v[5:6]
	s_waitcnt vmcnt(0) lgkmcnt(0)
	v_cmp_neq_f64_e32 vcc, 0, v[10:11]
	s_and_saveexec_b64 s[12:13], vcc
	s_cbranch_execz .LBB32_236
; %bb.238:                              ;   in Loop: Header=BB32_237 Depth=1
	flat_atomic_add v[12:13], v0
	s_branch .LBB32_236
.LBB32_239:
	s_or_b64 exec, exec, s[8:9]
	v_cmp_lt_i32_e32 vcc, 1, v2
	s_mov_b32 s18, 1
	s_and_b64 s[8:9], s[6:7], vcc
	s_and_saveexec_b64 s[6:7], s[8:9]
	s_cbranch_execz .LBB32_255
; %bb.240:
	v_add_co_u32_e32 v0, vcc, 8, v23
	v_addc_co_u32_e32 v1, vcc, 0, v4, vcc
	s_mov_b64 s[8:9], 0
	s_branch .LBB32_242
.LBB32_241:                             ;   in Loop: Header=BB32_242 Depth=1
	s_or_b64 exec, exec, s[10:11]
	s_add_i32 s18, s18, 1
	v_cmp_eq_u32_e32 vcc, s18, v2
	s_or_b64 s[8:9], vcc, s[8:9]
	v_add_co_u32_e32 v0, vcc, 8, v0
	v_addc_co_u32_e32 v1, vcc, 0, v1, vcc
	s_waitcnt vmcnt(0) lgkmcnt(0)
	s_barrier
	s_andn2_b64 exec, exec, s[8:9]
	s_cbranch_execz .LBB32_255
.LBB32_242:                             ; =>This Loop Header: Depth=1
                                        ;     Child Loop BB32_247 Depth 2
                                        ;     Child Loop BB32_254 Depth 2
                                        ; implicit-def: $vgpr11
	s_and_saveexec_b64 s[10:11], s[4:5]
	s_xor_b64 s[10:11], exec, s[10:11]
	s_cbranch_execz .LBB32_244
; %bb.243:                              ;   in Loop: Header=BB32_242 Depth=1
	buffer_load_dword v5, off, s[0:3], s32 offset:64 ; 4-byte Folded Reload
	buffer_load_dword v6, off, s[0:3], s32 offset:68 ; 4-byte Folded Reload
	s_waitcnt vmcnt(0)
	global_load_dwordx2 v[10:11], v[5:6], off
.LBB32_244:                             ;   in Loop: Header=BB32_242 Depth=1
	s_andn2_saveexec_b64 s[10:11], s[10:11]
	s_cbranch_execz .LBB32_252
; %bb.245:                              ;   in Loop: Header=BB32_242 Depth=1
	buffer_load_dword v5, off, s[0:3], s32 offset:64 ; 4-byte Folded Reload
	buffer_load_dword v6, off, s[0:3], s32 offset:68 ; 4-byte Folded Reload
	s_add_i32 s12, s18, -1
	s_ashr_i32 s13, s12, 31
	s_lshl_b64 s[14:15], s[12:13], 3
	v_mov_b32_e32 v3, s15
	s_waitcnt vmcnt(0)
	v_mov_b32_e32 v14, v1
	v_mov_b32_e32 v13, v0
	v_mov_b32_e32 v7, s12
	s_mov_b32 s13, s18
	global_load_dwordx3 v[10:12], v[5:6], off
	v_add_co_u32_e32 v5, vcc, s14, v23
	v_addc_co_u32_e32 v6, vcc, v4, v3, vcc
	flat_load_dwordx2 v[15:16], v[5:6]
	s_mov_b64 s[14:15], 0
	s_waitcnt vmcnt(0)
	ds_write_b32 v10, v7
	ds_write_b32 v11, v7
	s_waitcnt lgkmcnt(0)
	ds_write_b64 v12, v[15:16]
	s_branch .LBB32_247
.LBB32_246:                             ;   in Loop: Header=BB32_247 Depth=2
	s_or_b64 exec, exec, s[16:17]
	s_add_i32 s13, s13, 1
	v_cmp_eq_u32_e32 vcc, s13, v2
	s_or_b64 s[14:15], vcc, s[14:15]
	v_add_co_u32_e32 v13, vcc, 8, v13
	v_addc_co_u32_e32 v14, vcc, 0, v14, vcc
	s_andn2_b64 exec, exec, s[14:15]
	s_cbranch_execz .LBB32_249
.LBB32_247:                             ;   Parent Loop BB32_242 Depth=1
                                        ; =>  This Inner Loop Header: Depth=2
	flat_load_dwordx2 v[17:18], v[13:14]
	s_waitcnt vmcnt(0) lgkmcnt(0)
	v_cmp_lt_f64_e32 vcc, v[17:18], v[15:16]
	s_and_saveexec_b64 s[16:17], vcc
	s_cbranch_execz .LBB32_246
; %bb.248:                              ;   in Loop: Header=BB32_247 Depth=2
	v_mov_b32_e32 v15, v17
	v_mov_b32_e32 v7, s13
	;; [unrolled: 1-line block ×3, first 2 shown]
	ds_write_b32 v11, v7
	ds_write_b64 v12, v[17:18]
	s_branch .LBB32_246
.LBB32_249:                             ;   in Loop: Header=BB32_242 Depth=1
	s_or_b64 exec, exec, s[14:15]
	v_cmp_ne_u32_e32 vcc, s12, v7
	s_and_saveexec_b64 s[12:13], vcc
	s_cbranch_execz .LBB32_251
; %bb.250:                              ;   in Loop: Header=BB32_242 Depth=1
	flat_load_dwordx2 v[13:14], v[5:6]
	v_ashrrev_i32_e32 v8, 31, v7
	v_lshlrev_b64 v[7:8], 3, v[7:8]
	v_add_co_u32_e32 v7, vcc, v23, v7
	v_addc_co_u32_e32 v8, vcc, v4, v8, vcc
	s_waitcnt vmcnt(0) lgkmcnt(0)
	flat_store_dwordx2 v[7:8], v[13:14]
	ds_read_b64 v[7:8], v12
	s_waitcnt lgkmcnt(0)
	flat_store_dwordx2 v[5:6], v[7:8]
.LBB32_251:                             ;   in Loop: Header=BB32_242 Depth=1
	s_or_b64 exec, exec, s[12:13]
.LBB32_252:                             ;   in Loop: Header=BB32_242 Depth=1
	s_or_b64 exec, exec, s[10:11]
	s_waitcnt vmcnt(0) lgkmcnt(0)
	s_barrier
	ds_read_b32 v3, v11
	ds_read_b32 v5, v10
	s_waitcnt lgkmcnt(0)
	v_cmp_ne_u32_e32 vcc, v3, v5
	s_and_saveexec_b64 s[10:11], vcc
	s_cbranch_execz .LBB32_241
; %bb.253:                              ;   in Loop: Header=BB32_242 Depth=1
	buffer_load_dword v12, off, s[0:3], s32 offset:164 ; 4-byte Folded Reload
	v_mul_lo_u32 v6, v3, v9
	buffer_load_dword v3, off, s[0:3], s32 offset:160 ; 4-byte Folded Reload
	v_mul_lo_u32 v10, v5, v9
	s_mov_b64 s[12:13], 0
	v_ashrrev_i32_e32 v7, 31, v6
	v_lshlrev_b64 v[5:6], 3, v[6:7]
	v_ashrrev_i32_e32 v11, 31, v10
	v_lshlrev_b64 v[7:8], 3, v[10:11]
	s_waitcnt vmcnt(1)
	v_add_co_u32_e32 v5, vcc, v12, v5
	s_waitcnt vmcnt(0)
	v_addc_co_u32_e32 v6, vcc, v3, v6, vcc
	v_add_co_u32_e32 v7, vcc, v12, v7
	v_addc_co_u32_e32 v8, vcc, v3, v8, vcc
	v_mov_b32_e32 v3, v2
.LBB32_254:                             ;   Parent Loop BB32_242 Depth=1
                                        ; =>  This Inner Loop Header: Depth=2
	flat_load_dwordx2 v[10:11], v[5:6]
	flat_load_dwordx2 v[12:13], v[7:8]
	v_add_u32_e32 v3, -1, v3
	v_cmp_eq_u32_e32 vcc, 0, v3
	s_or_b64 s[12:13], vcc, s[12:13]
	s_waitcnt vmcnt(0) lgkmcnt(0)
	flat_store_dwordx2 v[7:8], v[10:11]
	flat_store_dwordx2 v[5:6], v[12:13]
	v_add_co_u32_e32 v5, vcc, 8, v5
	v_addc_co_u32_e32 v6, vcc, 0, v6, vcc
	v_add_co_u32_e32 v7, vcc, 8, v7
	v_addc_co_u32_e32 v8, vcc, 0, v8, vcc
	s_andn2_b64 exec, exec, s[12:13]
	s_cbranch_execnz .LBB32_254
	s_branch .LBB32_241
.LBB32_255:
	s_or_b64 exec, exec, s[6:7]
	buffer_load_dword v63, off, s[0:3], s32 ; 4-byte Folded Reload
	buffer_load_dword v62, off, s[0:3], s32 offset:4 ; 4-byte Folded Reload
	buffer_load_dword v61, off, s[0:3], s32 offset:8 ; 4-byte Folded Reload
	;; [unrolled: 1-line block ×15, first 2 shown]
	s_waitcnt vmcnt(0) lgkmcnt(0)
	s_setpc_b64 s[30:31]
.Lfunc_end32:
	.size	_ZN9rocsolver6v331009run_steqrIddEEviiiPT0_S3_PT_iPiS3_iS2_S2_S2_b, .Lfunc_end32-_ZN9rocsolver6v331009run_steqrIddEEviiiPT0_S3_PT_iPiS3_iS2_S2_S2_b
                                        ; -- End function
	.set .L_ZN9rocsolver6v331009run_steqrIddEEviiiPT0_S3_PT_iPiS3_iS2_S2_S2_b.num_vgpr, 64
	.set .L_ZN9rocsolver6v331009run_steqrIddEEviiiPT0_S3_PT_iPiS3_iS2_S2_S2_b.num_agpr, 0
	.set .L_ZN9rocsolver6v331009run_steqrIddEEviiiPT0_S3_PT_iPiS3_iS2_S2_S2_b.numbered_sgpr, 78
	.set .L_ZN9rocsolver6v331009run_steqrIddEEviiiPT0_S3_PT_iPiS3_iS2_S2_S2_b.num_named_barrier, 0
	.set .L_ZN9rocsolver6v331009run_steqrIddEEviiiPT0_S3_PT_iPiS3_iS2_S2_S2_b.private_seg_size, 244
	.set .L_ZN9rocsolver6v331009run_steqrIddEEviiiPT0_S3_PT_iPiS3_iS2_S2_S2_b.uses_vcc, 1
	.set .L_ZN9rocsolver6v331009run_steqrIddEEviiiPT0_S3_PT_iPiS3_iS2_S2_S2_b.uses_flat_scratch, 0
	.set .L_ZN9rocsolver6v331009run_steqrIddEEviiiPT0_S3_PT_iPiS3_iS2_S2_S2_b.has_dyn_sized_stack, 0
	.set .L_ZN9rocsolver6v331009run_steqrIddEEviiiPT0_S3_PT_iPiS3_iS2_S2_S2_b.has_recursion, 0
	.set .L_ZN9rocsolver6v331009run_steqrIddEEviiiPT0_S3_PT_iPiS3_iS2_S2_S2_b.has_indirect_call, 0
	.section	.AMDGPU.csdata,"",@progbits
; Function info:
; codeLenInByte = 18920
; TotalNumSgprs: 82
; NumVgprs: 64
; ScratchSize: 244
; MemoryBound: 0
	.section	.text._ZN9rocsolver6v33100L12steqr_kernelIddPdEEviPT0_lS4_lT1_iilPiS4_iS3_S3_S3_,"axG",@progbits,_ZN9rocsolver6v33100L12steqr_kernelIddPdEEviPT0_lS4_lT1_iilPiS4_iS3_S3_S3_,comdat
	.globl	_ZN9rocsolver6v33100L12steqr_kernelIddPdEEviPT0_lS4_lT1_iilPiS4_iS3_S3_S3_ ; -- Begin function _ZN9rocsolver6v33100L12steqr_kernelIddPdEEviPT0_lS4_lT1_iilPiS4_iS3_S3_S3_
	.p2align	8
	.type	_ZN9rocsolver6v33100L12steqr_kernelIddPdEEviPT0_lS4_lT1_iilPiS4_iS3_S3_S3_,@function
_ZN9rocsolver6v33100L12steqr_kernelIddPdEEviPT0_lS4_lT1_iilPiS4_iS3_S3_S3_: ; @_ZN9rocsolver6v33100L12steqr_kernelIddPdEEviPT0_lS4_lT1_iilPiS4_iS3_S3_S3_
; %bb.0:
	s_add_u32 s0, s0, s8
	s_mov_b32 s28, s7
	s_load_dword s33, s[4:5], 0x0
	s_load_dwordx8 s[16:23], s[4:5], 0x8
	s_load_dwordx8 s[8:15], s[4:5], 0x28
	s_load_dword s7, s[4:5], 0x70
	s_load_dword s29, s[4:5], 0x7c
	s_load_dwordx2 s[30:31], s[4:5], 0x48
	s_load_dword s36, s[4:5], 0x50
	s_load_dwordx4 s[24:27], s[4:5], 0x58
	s_load_dwordx2 s[34:35], s[4:5], 0x68
	s_addc_u32 s1, s1, 0
	s_waitcnt lgkmcnt(0)
	s_and_b32 s29, s29, 0xffff
	s_mul_i32 s6, s6, s29
	s_mul_i32 s37, s7, s29
	s_ashr_i32 s29, s28, 31
	v_add_u32_e32 v0, s6, v0
	s_mul_hi_u32 s6, s18, s28
	s_mul_i32 s7, s18, s29
	s_add_i32 s6, s6, s7
	s_mul_i32 s7, s19, s28
	s_add_i32 s7, s6, s7
	s_mul_i32 s6, s18, s28
	s_lshl_b32 s38, s33, 1
	s_lshl_b64 s[6:7], s[6:7], 3
	s_add_u32 s16, s16, s6
	s_addc_u32 s17, s17, s7
	s_mul_hi_u32 s6, s22, s28
	s_mul_i32 s7, s22, s29
	s_add_i32 s6, s6, s7
	s_mul_i32 s7, s23, s28
	s_add_i32 s7, s6, s7
	s_mul_i32 s6, s22, s28
	s_lshl_b64 s[6:7], s[6:7], 3
	s_add_u32 s18, s20, s6
	s_addc_u32 s19, s21, s7
	s_ashr_i32 s7, s10, 31
	s_mov_b32 s6, s10
	s_mul_hi_u32 s10, s12, s28
	s_mul_i32 s20, s12, s29
	s_add_i32 s10, s10, s20
	s_mul_i32 s13, s13, s28
	s_add_i32 s13, s10, s13
	s_mul_i32 s12, s12, s28
	s_lshl_b64 s[12:13], s[12:13], 3
	s_add_u32 s8, s8, s12
	s_addc_u32 s9, s9, s13
	s_lshl_b64 s[6:7], s[6:7], 3
	s_add_u32 s10, s8, s6
	s_addc_u32 s12, s9, s7
	s_mul_hi_i32 s7, s38, s28
	s_mul_i32 s6, s38, s28
	s_lshl_b64 s[6:7], s[6:7], 3
	s_add_u32 s13, s30, s6
	s_addc_u32 s20, s31, s7
	s_lshl_b64 s[6:7], s[28:29], 2
	s_add_u32 s6, s14, s6
	s_addc_u32 s7, s15, s7
	s_add_u32 s8, s4, 0x70
	s_addc_u32 s9, s5, 0
	s_getpc_b64 s[4:5]
	s_add_u32 s4, s4, _ZN9rocsolver6v331009run_steqrIddEEviiiPT0_S3_PT_iPiS3_iS2_S2_S2_b@rel32@lo+4
	s_addc_u32 s5, s5, _ZN9rocsolver6v331009run_steqrIddEEviiiPT0_S3_PT_iPiS3_iS2_S2_S2_b@rel32@hi+12
	s_mov_b32 s15, 0
	v_mov_b32_e32 v1, s37
	v_mov_b32_e32 v2, s33
	;; [unrolled: 1-line block ×21, first 2 shown]
	s_mov_b32 s32, 0
	s_swappc_b64 s[30:31], s[4:5]
	s_endpgm
	.section	.rodata,"a",@progbits
	.p2align	6, 0x0
	.amdhsa_kernel _ZN9rocsolver6v33100L12steqr_kernelIddPdEEviPT0_lS4_lT1_iilPiS4_iS3_S3_S3_
		.amdhsa_group_segment_fixed_size 48
		.amdhsa_private_segment_fixed_size 244
		.amdhsa_kernarg_size 368
		.amdhsa_user_sgpr_count 6
		.amdhsa_user_sgpr_private_segment_buffer 1
		.amdhsa_user_sgpr_dispatch_ptr 0
		.amdhsa_user_sgpr_queue_ptr 0
		.amdhsa_user_sgpr_kernarg_segment_ptr 1
		.amdhsa_user_sgpr_dispatch_id 0
		.amdhsa_user_sgpr_flat_scratch_init 0
		.amdhsa_user_sgpr_private_segment_size 0
		.amdhsa_uses_dynamic_stack 0
		.amdhsa_system_sgpr_private_segment_wavefront_offset 1
		.amdhsa_system_sgpr_workgroup_id_x 1
		.amdhsa_system_sgpr_workgroup_id_y 1
		.amdhsa_system_sgpr_workgroup_id_z 0
		.amdhsa_system_sgpr_workgroup_info 0
		.amdhsa_system_vgpr_workitem_id 0
		.amdhsa_next_free_vgpr 64
		.amdhsa_next_free_sgpr 78
		.amdhsa_reserve_vcc 1
		.amdhsa_reserve_flat_scratch 0
		.amdhsa_float_round_mode_32 0
		.amdhsa_float_round_mode_16_64 0
		.amdhsa_float_denorm_mode_32 3
		.amdhsa_float_denorm_mode_16_64 3
		.amdhsa_dx10_clamp 1
		.amdhsa_ieee_mode 1
		.amdhsa_fp16_overflow 0
		.amdhsa_exception_fp_ieee_invalid_op 0
		.amdhsa_exception_fp_denorm_src 0
		.amdhsa_exception_fp_ieee_div_zero 0
		.amdhsa_exception_fp_ieee_overflow 0
		.amdhsa_exception_fp_ieee_underflow 0
		.amdhsa_exception_fp_ieee_inexact 0
		.amdhsa_exception_int_div_zero 0
	.end_amdhsa_kernel
	.section	.text._ZN9rocsolver6v33100L12steqr_kernelIddPdEEviPT0_lS4_lT1_iilPiS4_iS3_S3_S3_,"axG",@progbits,_ZN9rocsolver6v33100L12steqr_kernelIddPdEEviPT0_lS4_lT1_iilPiS4_iS3_S3_S3_,comdat
.Lfunc_end33:
	.size	_ZN9rocsolver6v33100L12steqr_kernelIddPdEEviPT0_lS4_lT1_iilPiS4_iS3_S3_S3_, .Lfunc_end33-_ZN9rocsolver6v33100L12steqr_kernelIddPdEEviPT0_lS4_lT1_iilPiS4_iS3_S3_S3_
                                        ; -- End function
	.set _ZN9rocsolver6v33100L12steqr_kernelIddPdEEviPT0_lS4_lT1_iilPiS4_iS3_S3_S3_.num_vgpr, max(22, .L_ZN9rocsolver6v331009run_steqrIddEEviiiPT0_S3_PT_iPiS3_iS2_S2_S2_b.num_vgpr)
	.set _ZN9rocsolver6v33100L12steqr_kernelIddPdEEviPT0_lS4_lT1_iilPiS4_iS3_S3_S3_.num_agpr, max(0, .L_ZN9rocsolver6v331009run_steqrIddEEviiiPT0_S3_PT_iPiS3_iS2_S2_S2_b.num_agpr)
	.set _ZN9rocsolver6v33100L12steqr_kernelIddPdEEviPT0_lS4_lT1_iilPiS4_iS3_S3_S3_.numbered_sgpr, max(39, .L_ZN9rocsolver6v331009run_steqrIddEEviiiPT0_S3_PT_iPiS3_iS2_S2_S2_b.numbered_sgpr)
	.set _ZN9rocsolver6v33100L12steqr_kernelIddPdEEviPT0_lS4_lT1_iilPiS4_iS3_S3_S3_.num_named_barrier, max(0, .L_ZN9rocsolver6v331009run_steqrIddEEviiiPT0_S3_PT_iPiS3_iS2_S2_S2_b.num_named_barrier)
	.set _ZN9rocsolver6v33100L12steqr_kernelIddPdEEviPT0_lS4_lT1_iilPiS4_iS3_S3_S3_.private_seg_size, 0+max(.L_ZN9rocsolver6v331009run_steqrIddEEviiiPT0_S3_PT_iPiS3_iS2_S2_S2_b.private_seg_size)
	.set _ZN9rocsolver6v33100L12steqr_kernelIddPdEEviPT0_lS4_lT1_iilPiS4_iS3_S3_S3_.uses_vcc, or(1, .L_ZN9rocsolver6v331009run_steqrIddEEviiiPT0_S3_PT_iPiS3_iS2_S2_S2_b.uses_vcc)
	.set _ZN9rocsolver6v33100L12steqr_kernelIddPdEEviPT0_lS4_lT1_iilPiS4_iS3_S3_S3_.uses_flat_scratch, or(0, .L_ZN9rocsolver6v331009run_steqrIddEEviiiPT0_S3_PT_iPiS3_iS2_S2_S2_b.uses_flat_scratch)
	.set _ZN9rocsolver6v33100L12steqr_kernelIddPdEEviPT0_lS4_lT1_iilPiS4_iS3_S3_S3_.has_dyn_sized_stack, or(0, .L_ZN9rocsolver6v331009run_steqrIddEEviiiPT0_S3_PT_iPiS3_iS2_S2_S2_b.has_dyn_sized_stack)
	.set _ZN9rocsolver6v33100L12steqr_kernelIddPdEEviPT0_lS4_lT1_iilPiS4_iS3_S3_S3_.has_recursion, or(0, .L_ZN9rocsolver6v331009run_steqrIddEEviiiPT0_S3_PT_iPiS3_iS2_S2_S2_b.has_recursion)
	.set _ZN9rocsolver6v33100L12steqr_kernelIddPdEEviPT0_lS4_lT1_iilPiS4_iS3_S3_S3_.has_indirect_call, or(0, .L_ZN9rocsolver6v331009run_steqrIddEEviiiPT0_S3_PT_iPiS3_iS2_S2_S2_b.has_indirect_call)
	.section	.AMDGPU.csdata,"",@progbits
; Kernel info:
; codeLenInByte = 408
; TotalNumSgprs: 82
; NumVgprs: 64
; ScratchSize: 244
; MemoryBound: 0
; FloatMode: 240
; IeeeMode: 1
; LDSByteSize: 48 bytes/workgroup (compile time only)
; SGPRBlocks: 10
; VGPRBlocks: 15
; NumSGPRsForWavesPerEU: 82
; NumVGPRsForWavesPerEU: 64
; Occupancy: 4
; WaveLimiterHint : 0
; COMPUTE_PGM_RSRC2:SCRATCH_EN: 1
; COMPUTE_PGM_RSRC2:USER_SGPR: 6
; COMPUTE_PGM_RSRC2:TRAP_HANDLER: 0
; COMPUTE_PGM_RSRC2:TGID_X_EN: 1
; COMPUTE_PGM_RSRC2:TGID_Y_EN: 1
; COMPUTE_PGM_RSRC2:TGID_Z_EN: 0
; COMPUTE_PGM_RSRC2:TIDIG_COMP_CNT: 0
	.section	.text._ZN9rocsolver6v33100L10init_identIdPdEEviiT0_iil,"axG",@progbits,_ZN9rocsolver6v33100L10init_identIdPdEEviiT0_iil,comdat
	.globl	_ZN9rocsolver6v33100L10init_identIdPdEEviiT0_iil ; -- Begin function _ZN9rocsolver6v33100L10init_identIdPdEEviiT0_iil
	.p2align	8
	.type	_ZN9rocsolver6v33100L10init_identIdPdEEviiT0_iil,@function
_ZN9rocsolver6v33100L10init_identIdPdEEviiT0_iil: ; @_ZN9rocsolver6v33100L10init_identIdPdEEviiT0_iil
; %bb.0:
	s_load_dword s2, s[4:5], 0x2c
	s_load_dwordx2 s[0:1], s[4:5], 0x0
	s_waitcnt lgkmcnt(0)
	s_lshr_b32 s3, s2, 16
	s_and_b32 s2, s2, 0xffff
	s_mul_i32 s6, s6, s2
	s_mul_i32 s7, s7, s3
	v_add_u32_e32 v4, s6, v0
	v_add_u32_e32 v1, s7, v1
	v_cmp_gt_u32_e32 vcc, s0, v4
	v_cmp_gt_u32_e64 s[0:1], s1, v1
	s_and_b64 s[0:1], vcc, s[0:1]
	s_and_saveexec_b64 s[2:3], s[0:1]
	s_cbranch_execz .LBB34_6
; %bb.1:
	s_load_dwordx2 s[0:1], s[4:5], 0x10
	v_cmp_ne_u32_e32 vcc, v4, v1
                                        ; implicit-def: $vgpr0
	s_and_saveexec_b64 s[2:3], vcc
	s_xor_b64 s[2:3], exec, s[2:3]
	s_cbranch_execz .LBB34_3
; %bb.2:
	s_waitcnt lgkmcnt(0)
	v_mad_u64_u32 v[0:1], s[6:7], v1, s1, v[4:5]
                                        ; implicit-def: $vgpr4
.LBB34_3:
	s_or_saveexec_b64 s[2:3], s[2:3]
	v_mov_b32_e32 v2, 0
	v_mov_b32_e32 v3, 0
	s_xor_b64 exec, exec, s[2:3]
	s_cbranch_execz .LBB34_5
; %bb.4:
	s_waitcnt lgkmcnt(0)
	v_mad_u64_u32 v[0:1], s[6:7], v4, s1, v[4:5]
	v_mov_b32_e32 v2, 0
	v_mov_b32_e32 v3, 0x3ff00000
.LBB34_5:
	s_or_b64 exec, exec, s[2:3]
	s_load_dwordx2 s[2:3], s[4:5], 0x18
	s_load_dwordx2 s[6:7], s[4:5], 0x8
	s_waitcnt lgkmcnt(0)
	s_ashr_i32 s1, s0, 31
	v_mov_b32_e32 v1, 0
	v_lshlrev_b64 v[0:1], 3, v[0:1]
	s_mul_i32 s3, s3, s8
	s_mul_hi_u32 s4, s2, s8
	s_mul_i32 s2, s2, s8
	s_add_i32 s3, s4, s3
	s_lshl_b64 s[2:3], s[2:3], 3
	s_add_u32 s2, s6, s2
	s_addc_u32 s3, s7, s3
	s_lshl_b64 s[0:1], s[0:1], 3
	s_add_u32 s0, s2, s0
	s_addc_u32 s1, s3, s1
	v_mov_b32_e32 v4, s1
	v_add_co_u32_e32 v0, vcc, s0, v0
	v_addc_co_u32_e32 v1, vcc, v4, v1, vcc
	global_store_dwordx2 v[0:1], v[2:3], off
.LBB34_6:
	s_endpgm
	.section	.rodata,"a",@progbits
	.p2align	6, 0x0
	.amdhsa_kernel _ZN9rocsolver6v33100L10init_identIdPdEEviiT0_iil
		.amdhsa_group_segment_fixed_size 0
		.amdhsa_private_segment_fixed_size 0
		.amdhsa_kernarg_size 288
		.amdhsa_user_sgpr_count 6
		.amdhsa_user_sgpr_private_segment_buffer 1
		.amdhsa_user_sgpr_dispatch_ptr 0
		.amdhsa_user_sgpr_queue_ptr 0
		.amdhsa_user_sgpr_kernarg_segment_ptr 1
		.amdhsa_user_sgpr_dispatch_id 0
		.amdhsa_user_sgpr_flat_scratch_init 0
		.amdhsa_user_sgpr_private_segment_size 0
		.amdhsa_uses_dynamic_stack 0
		.amdhsa_system_sgpr_private_segment_wavefront_offset 0
		.amdhsa_system_sgpr_workgroup_id_x 1
		.amdhsa_system_sgpr_workgroup_id_y 1
		.amdhsa_system_sgpr_workgroup_id_z 1
		.amdhsa_system_sgpr_workgroup_info 0
		.amdhsa_system_vgpr_workitem_id 1
		.amdhsa_next_free_vgpr 6
		.amdhsa_next_free_sgpr 9
		.amdhsa_reserve_vcc 1
		.amdhsa_reserve_flat_scratch 0
		.amdhsa_float_round_mode_32 0
		.amdhsa_float_round_mode_16_64 0
		.amdhsa_float_denorm_mode_32 3
		.amdhsa_float_denorm_mode_16_64 3
		.amdhsa_dx10_clamp 1
		.amdhsa_ieee_mode 1
		.amdhsa_fp16_overflow 0
		.amdhsa_exception_fp_ieee_invalid_op 0
		.amdhsa_exception_fp_denorm_src 0
		.amdhsa_exception_fp_ieee_div_zero 0
		.amdhsa_exception_fp_ieee_overflow 0
		.amdhsa_exception_fp_ieee_underflow 0
		.amdhsa_exception_fp_ieee_inexact 0
		.amdhsa_exception_int_div_zero 0
	.end_amdhsa_kernel
	.section	.text._ZN9rocsolver6v33100L10init_identIdPdEEviiT0_iil,"axG",@progbits,_ZN9rocsolver6v33100L10init_identIdPdEEviiT0_iil,comdat
.Lfunc_end34:
	.size	_ZN9rocsolver6v33100L10init_identIdPdEEviiT0_iil, .Lfunc_end34-_ZN9rocsolver6v33100L10init_identIdPdEEviiT0_iil
                                        ; -- End function
	.set _ZN9rocsolver6v33100L10init_identIdPdEEviiT0_iil.num_vgpr, 6
	.set _ZN9rocsolver6v33100L10init_identIdPdEEviiT0_iil.num_agpr, 0
	.set _ZN9rocsolver6v33100L10init_identIdPdEEviiT0_iil.numbered_sgpr, 9
	.set _ZN9rocsolver6v33100L10init_identIdPdEEviiT0_iil.num_named_barrier, 0
	.set _ZN9rocsolver6v33100L10init_identIdPdEEviiT0_iil.private_seg_size, 0
	.set _ZN9rocsolver6v33100L10init_identIdPdEEviiT0_iil.uses_vcc, 1
	.set _ZN9rocsolver6v33100L10init_identIdPdEEviiT0_iil.uses_flat_scratch, 0
	.set _ZN9rocsolver6v33100L10init_identIdPdEEviiT0_iil.has_dyn_sized_stack, 0
	.set _ZN9rocsolver6v33100L10init_identIdPdEEviiT0_iil.has_recursion, 0
	.set _ZN9rocsolver6v33100L10init_identIdPdEEviiT0_iil.has_indirect_call, 0
	.section	.AMDGPU.csdata,"",@progbits
; Kernel info:
; codeLenInByte = 256
; TotalNumSgprs: 13
; NumVgprs: 6
; ScratchSize: 0
; MemoryBound: 0
; FloatMode: 240
; IeeeMode: 1
; LDSByteSize: 0 bytes/workgroup (compile time only)
; SGPRBlocks: 1
; VGPRBlocks: 1
; NumSGPRsForWavesPerEU: 13
; NumVGPRsForWavesPerEU: 6
; Occupancy: 10
; WaveLimiterHint : 0
; COMPUTE_PGM_RSRC2:SCRATCH_EN: 0
; COMPUTE_PGM_RSRC2:USER_SGPR: 6
; COMPUTE_PGM_RSRC2:TRAP_HANDLER: 0
; COMPUTE_PGM_RSRC2:TGID_X_EN: 1
; COMPUTE_PGM_RSRC2:TGID_Y_EN: 1
; COMPUTE_PGM_RSRC2:TGID_Z_EN: 1
; COMPUTE_PGM_RSRC2:TIDIG_COMP_CNT: 1
	.section	.text._ZN9rocsolver6v33100L19stedc_divide_kernelIdEEviiiPT_lS3_liPi,"axG",@progbits,_ZN9rocsolver6v33100L19stedc_divide_kernelIdEEviiiPT_lS3_liPi,comdat
	.globl	_ZN9rocsolver6v33100L19stedc_divide_kernelIdEEviiiPT_lS3_liPi ; -- Begin function _ZN9rocsolver6v33100L19stedc_divide_kernelIdEEviiiPT_lS3_liPi
	.p2align	8
	.type	_ZN9rocsolver6v33100L19stedc_divide_kernelIdEEviiiPT_lS3_liPi,@function
_ZN9rocsolver6v33100L19stedc_divide_kernelIdEEviiiPT_lS3_liPi: ; @_ZN9rocsolver6v33100L19stedc_divide_kernelIdEEviiiPT_lS3_liPi
; %bb.0:
	s_load_dword s0, s[4:5], 0x4c
	s_load_dword s1, s[4:5], 0x30
	s_waitcnt lgkmcnt(0)
	s_and_b32 s0, s0, 0xffff
	s_mul_i32 s6, s6, s0
	v_add_u32_e32 v4, s6, v0
	v_cmp_gt_i32_e32 vcc, s1, v4
	s_and_saveexec_b64 s[0:1], vcc
	s_cbranch_execz .LBB35_10
; %bb.1:
	s_load_dwordx4 s[8:11], s[4:5], 0x0
	s_load_dwordx2 s[2:3], s[4:5], 0x38
	s_waitcnt lgkmcnt(0)
	s_mul_i32 s0, s10, 13
	v_mul_lo_u32 v0, s0, v4
	v_mov_b32_e32 v3, s3
	v_mov_b32_e32 v5, s10
	s_cmp_lt_i32 s8, 1
	v_ashrrev_i32_e32 v1, 31, v0
	v_lshlrev_b64 v[1:2], 2, v[0:1]
	v_add_co_u32_e32 v0, vcc, s2, v1
	v_addc_co_u32_e64 v1, s[0:1], v3, v2, vcc
	global_store_dword v[0:1], v5, off
	s_cbranch_scc1 .LBB35_7
; %bb.2:
	v_mov_b32_e32 v3, s3
	v_addc_co_u32_e32 v2, vcc, v3, v2, vcc
	v_add_co_u32_e32 v5, vcc, -4, v0
	v_addc_co_u32_e32 v6, vcc, -1, v2, vcc
	s_mov_b32 s1, 0
	s_mov_b32 s2, 0
	s_branch .LBB35_4
.LBB35_3:                               ;   in Loop: Header=BB35_4 Depth=1
	s_add_i32 s2, s2, 1
	s_cmp_eq_u32 s2, s8
	s_cbranch_scc1 .LBB35_7
.LBB35_4:                               ; =>This Loop Header: Depth=1
                                        ;     Child Loop BB35_6 Depth 2
	s_cmp_eq_u32 s2, 31
	s_cbranch_scc1 .LBB35_3
; %bb.5:                                ;   in Loop: Header=BB35_4 Depth=1
	s_lshl_b32 s0, 1, s2
	s_lshl_b64 s[6:7], s[0:1], 2
	v_mov_b32_e32 v3, s7
	v_add_co_u32_e32 v2, vcc, s6, v5
	s_add_i32 s3, s0, 1
	v_addc_co_u32_e32 v3, vcc, v6, v3, vcc
	s_lshl_b32 s0, s0, 1
.LBB35_6:                               ;   Parent Loop BB35_4 Depth=1
                                        ; =>  This Inner Loop Header: Depth=2
	global_load_dword v9, v[2:3], off
	v_add_co_u32_e32 v2, vcc, -4, v2
	s_lshl_b64 s[6:7], s[0:1], 2
	v_addc_co_u32_e32 v3, vcc, -1, v3, vcc
	s_add_i32 s3, s3, -1
	s_add_i32 s0, s0, -2
	v_mov_b32_e32 v8, s7
	v_add_co_u32_e32 v7, vcc, s6, v0
	s_cmp_lt_u32 s3, 2
	v_addc_co_u32_e32 v8, vcc, v1, v8, vcc
	s_waitcnt vmcnt(0)
	v_lshrrev_b32_e32 v10, 31, v9
	v_and_b32_e32 v11, 1, v9
	v_add_u32_e32 v9, v9, v10
	v_ashrrev_i32_e32 v9, 1, v9
	v_add_u32_e32 v10, v9, v11
	global_store_dwordx2 v[7:8], v[9:10], off offset:-8
	s_cbranch_scc0 .LBB35_6
	s_branch .LBB35_3
.LBB35_7:
	s_ashr_i32 s11, s10, 31
	s_lshl_b64 s[0:1], s[10:11], 2
	v_mov_b32_e32 v2, s1
	v_add_co_u32_e32 v5, vcc, s0, v0
	v_addc_co_u32_e32 v6, vcc, v1, v2, vcc
	v_mov_b32_e32 v2, 0
	s_cmp_lt_i32 s9, 2
	global_store_dword v[5:6], v2, off
	s_cbranch_scc1 .LBB35_10
; %bb.8:
	s_load_dwordx8 s[12:19], s[4:5], 0x10
	v_ashrrev_i32_e32 v3, 31, v4
	s_waitcnt lgkmcnt(0)
	v_mul_lo_u32 v7, s15, v4
	v_mul_lo_u32 v8, s14, v3
	v_mad_u64_u32 v[5:6], s[2:3], s14, v4, 0
	v_mul_lo_u32 v10, s19, v4
	v_mul_lo_u32 v3, s18, v3
	v_add3_u32 v6, v6, v8, v7
	v_mad_u64_u32 v[7:8], s[2:3], s18, v4, 0
	v_lshlrev_b64 v[5:6], 3, v[5:6]
	v_mov_b32_e32 v9, s13
	v_add_co_u32_e32 v4, vcc, s12, v5
	v_add3_u32 v8, v8, v3, v10
	v_addc_co_u32_e32 v5, vcc, v9, v6, vcc
	v_lshlrev_b64 v[6:7], 3, v[7:8]
	s_add_i32 s2, s9, -1
	s_add_u32 s0, s0, 4
	v_mov_b32_e32 v3, s17
	v_add_co_u32_e32 v6, vcc, s16, v6
	s_addc_u32 s1, s1, 0
	v_addc_co_u32_e32 v7, vcc, v3, v7, vcc
	v_mov_b32_e32 v8, s1
.LBB35_9:                               ; =>This Inner Loop Header: Depth=1
	global_load_dword v3, v[0:1], off
	s_add_i32 s2, s2, -1
	s_cmp_lg_u32 s2, 0
	s_waitcnt vmcnt(0)
	v_add_u32_e32 v2, v3, v2
	v_ashrrev_i32_e32 v3, 31, v2
	v_lshlrev_b64 v[9:10], 3, v[2:3]
	v_add_co_u32_e32 v13, vcc, v6, v9
	v_addc_co_u32_e32 v14, vcc, v7, v10, vcc
	v_add_co_u32_e32 v15, vcc, v4, v9
	v_addc_co_u32_e32 v16, vcc, v5, v10, vcc
	global_load_dwordx2 v[17:18], v[13:14], off offset:-8
	global_load_dwordx4 v[9:12], v[15:16], off offset:-8
	v_add_co_u32_e32 v13, vcc, s0, v0
	v_addc_co_u32_e32 v14, vcc, v1, v8, vcc
	v_add_co_u32_e32 v0, vcc, 4, v0
	v_addc_co_u32_e32 v1, vcc, 0, v1, vcc
	s_waitcnt vmcnt(0)
	v_add_f64 v[11:12], v[11:12], -v[17:18]
	v_add_f64 v[9:10], v[9:10], -v[17:18]
	global_store_dword v[13:14], v2, off
	global_store_dwordx4 v[15:16], v[9:12], off offset:-8
	s_cbranch_scc1 .LBB35_9
.LBB35_10:
	s_endpgm
	.section	.rodata,"a",@progbits
	.p2align	6, 0x0
	.amdhsa_kernel _ZN9rocsolver6v33100L19stedc_divide_kernelIdEEviiiPT_lS3_liPi
		.amdhsa_group_segment_fixed_size 0
		.amdhsa_private_segment_fixed_size 0
		.amdhsa_kernarg_size 320
		.amdhsa_user_sgpr_count 6
		.amdhsa_user_sgpr_private_segment_buffer 1
		.amdhsa_user_sgpr_dispatch_ptr 0
		.amdhsa_user_sgpr_queue_ptr 0
		.amdhsa_user_sgpr_kernarg_segment_ptr 1
		.amdhsa_user_sgpr_dispatch_id 0
		.amdhsa_user_sgpr_flat_scratch_init 0
		.amdhsa_user_sgpr_private_segment_size 0
		.amdhsa_uses_dynamic_stack 0
		.amdhsa_system_sgpr_private_segment_wavefront_offset 0
		.amdhsa_system_sgpr_workgroup_id_x 1
		.amdhsa_system_sgpr_workgroup_id_y 0
		.amdhsa_system_sgpr_workgroup_id_z 0
		.amdhsa_system_sgpr_workgroup_info 0
		.amdhsa_system_vgpr_workitem_id 0
		.amdhsa_next_free_vgpr 19
		.amdhsa_next_free_sgpr 20
		.amdhsa_reserve_vcc 1
		.amdhsa_reserve_flat_scratch 0
		.amdhsa_float_round_mode_32 0
		.amdhsa_float_round_mode_16_64 0
		.amdhsa_float_denorm_mode_32 3
		.amdhsa_float_denorm_mode_16_64 3
		.amdhsa_dx10_clamp 1
		.amdhsa_ieee_mode 1
		.amdhsa_fp16_overflow 0
		.amdhsa_exception_fp_ieee_invalid_op 0
		.amdhsa_exception_fp_denorm_src 0
		.amdhsa_exception_fp_ieee_div_zero 0
		.amdhsa_exception_fp_ieee_overflow 0
		.amdhsa_exception_fp_ieee_underflow 0
		.amdhsa_exception_fp_ieee_inexact 0
		.amdhsa_exception_int_div_zero 0
	.end_amdhsa_kernel
	.section	.text._ZN9rocsolver6v33100L19stedc_divide_kernelIdEEviiiPT_lS3_liPi,"axG",@progbits,_ZN9rocsolver6v33100L19stedc_divide_kernelIdEEviiiPT_lS3_liPi,comdat
.Lfunc_end35:
	.size	_ZN9rocsolver6v33100L19stedc_divide_kernelIdEEviiiPT_lS3_liPi, .Lfunc_end35-_ZN9rocsolver6v33100L19stedc_divide_kernelIdEEviiiPT_lS3_liPi
                                        ; -- End function
	.set _ZN9rocsolver6v33100L19stedc_divide_kernelIdEEviiiPT_lS3_liPi.num_vgpr, 19
	.set _ZN9rocsolver6v33100L19stedc_divide_kernelIdEEviiiPT_lS3_liPi.num_agpr, 0
	.set _ZN9rocsolver6v33100L19stedc_divide_kernelIdEEviiiPT_lS3_liPi.numbered_sgpr, 20
	.set _ZN9rocsolver6v33100L19stedc_divide_kernelIdEEviiiPT_lS3_liPi.num_named_barrier, 0
	.set _ZN9rocsolver6v33100L19stedc_divide_kernelIdEEviiiPT_lS3_liPi.private_seg_size, 0
	.set _ZN9rocsolver6v33100L19stedc_divide_kernelIdEEviiiPT_lS3_liPi.uses_vcc, 1
	.set _ZN9rocsolver6v33100L19stedc_divide_kernelIdEEviiiPT_lS3_liPi.uses_flat_scratch, 0
	.set _ZN9rocsolver6v33100L19stedc_divide_kernelIdEEviiiPT_lS3_liPi.has_dyn_sized_stack, 0
	.set _ZN9rocsolver6v33100L19stedc_divide_kernelIdEEviiiPT_lS3_liPi.has_recursion, 0
	.set _ZN9rocsolver6v33100L19stedc_divide_kernelIdEEviiiPT_lS3_liPi.has_indirect_call, 0
	.section	.AMDGPU.csdata,"",@progbits
; Kernel info:
; codeLenInByte = 592
; TotalNumSgprs: 24
; NumVgprs: 19
; ScratchSize: 0
; MemoryBound: 0
; FloatMode: 240
; IeeeMode: 1
; LDSByteSize: 0 bytes/workgroup (compile time only)
; SGPRBlocks: 2
; VGPRBlocks: 4
; NumSGPRsForWavesPerEU: 24
; NumVGPRsForWavesPerEU: 19
; Occupancy: 10
; WaveLimiterHint : 1
; COMPUTE_PGM_RSRC2:SCRATCH_EN: 0
; COMPUTE_PGM_RSRC2:USER_SGPR: 6
; COMPUTE_PGM_RSRC2:TRAP_HANDLER: 0
; COMPUTE_PGM_RSRC2:TGID_X_EN: 1
; COMPUTE_PGM_RSRC2:TGID_Y_EN: 0
; COMPUTE_PGM_RSRC2:TGID_Z_EN: 0
; COMPUTE_PGM_RSRC2:TIDIG_COMP_CNT: 0
	.section	.text._ZN9rocsolver6v33100L18stedc_solve_kernelIdEEviiPT_lS3_lS3_iilPiS3_S4_S2_S2_S2_,"axG",@progbits,_ZN9rocsolver6v33100L18stedc_solve_kernelIdEEviiPT_lS3_lS3_iilPiS3_S4_S2_S2_S2_,comdat
	.globl	_ZN9rocsolver6v33100L18stedc_solve_kernelIdEEviiPT_lS3_lS3_iilPiS3_S4_S2_S2_S2_ ; -- Begin function _ZN9rocsolver6v33100L18stedc_solve_kernelIdEEviiPT_lS3_lS3_iilPiS3_S4_S2_S2_S2_
	.p2align	8
	.type	_ZN9rocsolver6v33100L18stedc_solve_kernelIdEEviiPT_lS3_lS3_iilPiS3_S4_S2_S2_S2_,@function
_ZN9rocsolver6v33100L18stedc_solve_kernelIdEEviiPT_lS3_lS3_iilPiS3_S4_S2_S2_S2_: ; @_ZN9rocsolver6v33100L18stedc_solve_kernelIdEEviiPT_lS3_lS3_iilPiS3_S4_S2_S2_S2_
; %bb.0:
	s_add_u32 s0, s0, s8
	s_mov_b32 s28, s7
	s_load_dword s30, s[4:5], 0x4
	s_load_dword s7, s[4:5], 0x7c
	s_load_dwordx4 s[24:27], s[4:5], 0x28
	s_load_dwordx8 s[16:23], s[4:5], 0x8
	s_load_dwordx8 s[8:15], s[4:5], 0x38
	s_addc_u32 s1, s1, 0
	s_ashr_i32 s29, s28, 31
	s_waitcnt lgkmcnt(0)
	s_and_b32 s33, s7, 0xffff
	s_ashr_i32 s35, s26, 31
	s_mov_b32 s34, s26
	s_mul_hi_u32 s7, s8, s28
	s_mul_i32 s26, s8, s29
	s_add_i32 s7, s7, s26
	s_mul_i32 s9, s9, s28
	s_add_i32 s9, s7, s9
	s_mul_i32 s8, s8, s28
	s_ashr_i32 s31, s30, 31
	s_lshl_b64 s[8:9], s[8:9], 3
	s_add_u32 s7, s24, s8
	s_addc_u32 s24, s25, s9
	s_lshl_b64 s[8:9], s[34:35], 3
	s_add_u32 s25, s7, s8
	s_mul_hi_u32 s7, s18, s28
	s_mul_i32 s8, s18, s29
	s_addc_u32 s24, s24, s9
	s_add_i32 s7, s7, s8
	s_mul_i32 s8, s19, s28
	s_add_i32 s9, s7, s8
	s_mul_i32 s8, s18, s28
	s_lshl_b64 s[8:9], s[8:9], 3
	s_add_u32 s26, s16, s8
	s_mul_hi_u32 s7, s22, s28
	s_mul_i32 s8, s22, s29
	s_addc_u32 s34, s17, s9
	s_add_i32 s7, s7, s8
	s_mul_i32 s8, s23, s28
	s_add_i32 s9, s7, s8
	s_mul_i32 s8, s22, s28
	s_lshl_b64 s[8:9], s[8:9], 3
	s_add_u32 s20, s20, s8
	s_addc_u32 s21, s21, s9
	s_lshl_b64 s[8:9], s[28:29], 2
	s_mul_i32 s7, s28, s30
	s_add_u32 s10, s10, s8
	s_mul_i32 s8, s7, 13
	s_addc_u32 s11, s11, s9
	s_ashr_i32 s9, s8, 31
	s_lshl_b64 s[8:9], s[8:9], 2
	s_add_u32 s14, s14, s8
	s_addc_u32 s15, s15, s9
	s_lshl_b64 s[8:9], s[30:31], 2
	s_add_u32 s16, s14, s8
	s_addc_u32 s17, s15, s9
	s_lshl_b32 s8, s7, 1
	s_ashr_i32 s9, s8, 31
	s_lshl_b64 s[8:9], s[8:9], 3
	s_add_u32 s12, s12, s8
	s_addc_u32 s13, s13, s9
	s_ashr_i32 s7, s6, 31
	s_lshl_b64 s[6:7], s[6:7], 2
	s_add_u32 s8, s14, s6
	s_addc_u32 s9, s15, s7
	v_mov_b32_e32 v1, 0
	s_add_u32 s6, s16, s6
	s_addc_u32 s7, s17, s7
	global_load_dword v2, v1, s[8:9]
	global_load_dword v3, v1, s[6:7]
	v_mov_b32_e32 v12, s34
	v_mov_b32_e32 v13, s21
	s_load_dwordx2 s[6:7], s[4:5], 0x68
	s_load_dwordx4 s[16:19], s[4:5], 0x58
	v_mov_b32_e32 v1, s24
	v_mov_b32_e32 v15, s13
	s_add_u32 s8, s4, 0x70
	s_addc_u32 s9, s5, 0
	s_getpc_b64 s[4:5]
	s_add_u32 s4, s4, _ZN9rocsolver6v331009run_steqrIddEEviiiPT0_S3_PT_iPiS3_iS2_S2_S2_b@rel32@lo+4
	s_addc_u32 s5, s5, _ZN9rocsolver6v331009run_steqrIddEEviiiPT0_S3_PT_iPiS3_iS2_S2_S2_b@rel32@hi+12
	s_mov_b32 s15, 1
	s_waitcnt lgkmcnt(0)
	v_mov_b32_e32 v17, s18
	v_mov_b32_e32 v18, s19
	;; [unrolled: 1-line block ×5, first 2 shown]
	s_mov_b32 s32, 0
	s_waitcnt vmcnt(1)
	v_mul_lo_u32 v14, v2, 30
	s_waitcnt vmcnt(0)
	v_ashrrev_i32_e32 v4, 31, v3
	v_lshlrev_b64 v[8:9], 3, v[3:4]
	v_mul_lo_u32 v7, v3, s27
	v_lshlrev_b32_e32 v5, 1, v3
	v_add_co_u32_e32 v3, vcc, s26, v8
	v_ashrrev_i32_e32 v6, 31, v5
	v_addc_co_u32_e32 v4, vcc, v12, v9, vcc
	v_lshlrev_b64 v[10:11], 3, v[5:6]
	v_add_co_u32_e32 v5, vcc, s20, v8
	v_addc_co_u32_e32 v6, vcc, v13, v9, vcc
	v_add_co_u32_e32 v16, vcc, s25, v8
	v_addc_co_u32_e32 v1, vcc, v1, v9, vcc
	v_ashrrev_i32_e32 v8, 31, v7
	v_add_co_u32_e32 v12, vcc, s12, v10
	v_lshlrev_b64 v[7:8], 3, v[7:8]
	v_addc_co_u32_e32 v13, vcc, v15, v11, vcc
	v_add_co_u32_e32 v7, vcc, v16, v7
	v_addc_co_u32_e32 v8, vcc, v1, v8, vcc
	v_mov_b32_e32 v9, s27
	v_mov_b32_e32 v15, s16
	v_mov_b32_e32 v1, s33
	v_mov_b32_e32 v10, s10
	v_mov_b32_e32 v11, s11
	v_mov_b32_e32 v16, s17
	s_swappc_b64 s[30:31], s[4:5]
	s_endpgm
	.section	.rodata,"a",@progbits
	.p2align	6, 0x0
	.amdhsa_kernel _ZN9rocsolver6v33100L18stedc_solve_kernelIdEEviiPT_lS3_lS3_iilPiS3_S4_S2_S2_S2_
		.amdhsa_group_segment_fixed_size 48
		.amdhsa_private_segment_fixed_size 244
		.amdhsa_kernarg_size 368
		.amdhsa_user_sgpr_count 6
		.amdhsa_user_sgpr_private_segment_buffer 1
		.amdhsa_user_sgpr_dispatch_ptr 0
		.amdhsa_user_sgpr_queue_ptr 0
		.amdhsa_user_sgpr_kernarg_segment_ptr 1
		.amdhsa_user_sgpr_dispatch_id 0
		.amdhsa_user_sgpr_flat_scratch_init 0
		.amdhsa_user_sgpr_private_segment_size 0
		.amdhsa_uses_dynamic_stack 0
		.amdhsa_system_sgpr_private_segment_wavefront_offset 1
		.amdhsa_system_sgpr_workgroup_id_x 1
		.amdhsa_system_sgpr_workgroup_id_y 1
		.amdhsa_system_sgpr_workgroup_id_z 0
		.amdhsa_system_sgpr_workgroup_info 0
		.amdhsa_system_vgpr_workitem_id 0
		.amdhsa_next_free_vgpr 64
		.amdhsa_next_free_sgpr 78
		.amdhsa_reserve_vcc 1
		.amdhsa_reserve_flat_scratch 0
		.amdhsa_float_round_mode_32 0
		.amdhsa_float_round_mode_16_64 0
		.amdhsa_float_denorm_mode_32 3
		.amdhsa_float_denorm_mode_16_64 3
		.amdhsa_dx10_clamp 1
		.amdhsa_ieee_mode 1
		.amdhsa_fp16_overflow 0
		.amdhsa_exception_fp_ieee_invalid_op 0
		.amdhsa_exception_fp_denorm_src 0
		.amdhsa_exception_fp_ieee_div_zero 0
		.amdhsa_exception_fp_ieee_overflow 0
		.amdhsa_exception_fp_ieee_underflow 0
		.amdhsa_exception_fp_ieee_inexact 0
		.amdhsa_exception_int_div_zero 0
	.end_amdhsa_kernel
	.section	.text._ZN9rocsolver6v33100L18stedc_solve_kernelIdEEviiPT_lS3_lS3_iilPiS3_S4_S2_S2_S2_,"axG",@progbits,_ZN9rocsolver6v33100L18stedc_solve_kernelIdEEviiPT_lS3_lS3_iilPiS3_S4_S2_S2_S2_,comdat
.Lfunc_end36:
	.size	_ZN9rocsolver6v33100L18stedc_solve_kernelIdEEviiPT_lS3_lS3_iilPiS3_S4_S2_S2_S2_, .Lfunc_end36-_ZN9rocsolver6v33100L18stedc_solve_kernelIdEEviiPT_lS3_lS3_iilPiS3_S4_S2_S2_S2_
                                        ; -- End function
	.set _ZN9rocsolver6v33100L18stedc_solve_kernelIdEEviiPT_lS3_lS3_iilPiS3_S4_S2_S2_S2_.num_vgpr, max(22, .L_ZN9rocsolver6v331009run_steqrIddEEviiiPT0_S3_PT_iPiS3_iS2_S2_S2_b.num_vgpr)
	.set _ZN9rocsolver6v33100L18stedc_solve_kernelIdEEviiPT_lS3_lS3_iilPiS3_S4_S2_S2_S2_.num_agpr, max(0, .L_ZN9rocsolver6v331009run_steqrIddEEviiiPT0_S3_PT_iPiS3_iS2_S2_S2_b.num_agpr)
	.set _ZN9rocsolver6v33100L18stedc_solve_kernelIdEEviiPT_lS3_lS3_iilPiS3_S4_S2_S2_S2_.numbered_sgpr, max(36, .L_ZN9rocsolver6v331009run_steqrIddEEviiiPT0_S3_PT_iPiS3_iS2_S2_S2_b.numbered_sgpr)
	.set _ZN9rocsolver6v33100L18stedc_solve_kernelIdEEviiPT_lS3_lS3_iilPiS3_S4_S2_S2_S2_.num_named_barrier, max(0, .L_ZN9rocsolver6v331009run_steqrIddEEviiiPT0_S3_PT_iPiS3_iS2_S2_S2_b.num_named_barrier)
	.set _ZN9rocsolver6v33100L18stedc_solve_kernelIdEEviiPT_lS3_lS3_iilPiS3_S4_S2_S2_S2_.private_seg_size, 0+max(.L_ZN9rocsolver6v331009run_steqrIddEEviiiPT0_S3_PT_iPiS3_iS2_S2_S2_b.private_seg_size)
	.set _ZN9rocsolver6v33100L18stedc_solve_kernelIdEEviiPT_lS3_lS3_iilPiS3_S4_S2_S2_S2_.uses_vcc, or(1, .L_ZN9rocsolver6v331009run_steqrIddEEviiiPT0_S3_PT_iPiS3_iS2_S2_S2_b.uses_vcc)
	.set _ZN9rocsolver6v33100L18stedc_solve_kernelIdEEviiPT_lS3_lS3_iilPiS3_S4_S2_S2_S2_.uses_flat_scratch, or(0, .L_ZN9rocsolver6v331009run_steqrIddEEviiiPT0_S3_PT_iPiS3_iS2_S2_S2_b.uses_flat_scratch)
	.set _ZN9rocsolver6v33100L18stedc_solve_kernelIdEEviiPT_lS3_lS3_iilPiS3_S4_S2_S2_S2_.has_dyn_sized_stack, or(0, .L_ZN9rocsolver6v331009run_steqrIddEEviiiPT0_S3_PT_iPiS3_iS2_S2_S2_b.has_dyn_sized_stack)
	.set _ZN9rocsolver6v33100L18stedc_solve_kernelIdEEviiPT_lS3_lS3_iilPiS3_S4_S2_S2_S2_.has_recursion, or(0, .L_ZN9rocsolver6v331009run_steqrIddEEviiiPT0_S3_PT_iPiS3_iS2_S2_S2_b.has_recursion)
	.set _ZN9rocsolver6v33100L18stedc_solve_kernelIdEEviiPT_lS3_lS3_iilPiS3_S4_S2_S2_S2_.has_indirect_call, or(0, .L_ZN9rocsolver6v331009run_steqrIddEEviiiPT0_S3_PT_iPiS3_iS2_S2_S2_b.has_indirect_call)
	.section	.AMDGPU.csdata,"",@progbits
; Kernel info:
; codeLenInByte = 544
; TotalNumSgprs: 82
; NumVgprs: 64
; ScratchSize: 244
; MemoryBound: 0
; FloatMode: 240
; IeeeMode: 1
; LDSByteSize: 48 bytes/workgroup (compile time only)
; SGPRBlocks: 10
; VGPRBlocks: 15
; NumSGPRsForWavesPerEU: 82
; NumVGPRsForWavesPerEU: 64
; Occupancy: 4
; WaveLimiterHint : 0
; COMPUTE_PGM_RSRC2:SCRATCH_EN: 1
; COMPUTE_PGM_RSRC2:USER_SGPR: 6
; COMPUTE_PGM_RSRC2:TRAP_HANDLER: 0
; COMPUTE_PGM_RSRC2:TGID_X_EN: 1
; COMPUTE_PGM_RSRC2:TGID_Y_EN: 1
; COMPUTE_PGM_RSRC2:TGID_Z_EN: 0
; COMPUTE_PGM_RSRC2:TIDIG_COMP_CNT: 0
	.section	.text._ZN9rocsolver6v33100L37stedc_mergePrepare_DeflateZero_kernelIdEEviiPT_lS3_lS3_iilS3_PiS2_,"axG",@progbits,_ZN9rocsolver6v33100L37stedc_mergePrepare_DeflateZero_kernelIdEEviiPT_lS3_lS3_iilS3_PiS2_,comdat
	.globl	_ZN9rocsolver6v33100L37stedc_mergePrepare_DeflateZero_kernelIdEEviiPT_lS3_lS3_iilS3_PiS2_ ; -- Begin function _ZN9rocsolver6v33100L37stedc_mergePrepare_DeflateZero_kernelIdEEviiPT_lS3_lS3_iilS3_PiS2_
	.p2align	8
	.type	_ZN9rocsolver6v33100L37stedc_mergePrepare_DeflateZero_kernelIdEEviiPT_lS3_lS3_iilS3_PiS2_,@function
_ZN9rocsolver6v33100L37stedc_mergePrepare_DeflateZero_kernelIdEEviiPT_lS3_lS3_iilS3_PiS2_: ; @_ZN9rocsolver6v33100L37stedc_mergePrepare_DeflateZero_kernelIdEEviiPT_lS3_lS3_iilS3_PiS2_
; %bb.0:
	s_load_dword s24, s[4:5], 0x4
	s_load_dwordx8 s[16:23], s[4:5], 0x8
	s_load_dwordx8 s[8:15], s[4:5], 0x38
	s_ashr_i32 s39, s7, 31
	s_load_dwordx2 s[26:27], s[4:5], 0x28
	s_waitcnt lgkmcnt(0)
	s_ashr_i32 s25, s24, 31
	s_mul_hi_u32 s0, s22, s7
	s_mul_i32 s1, s22, s39
	s_add_i32 s0, s0, s1
	s_mul_i32 s1, s23, s7
	s_add_i32 s1, s0, s1
	s_mul_i32 s0, s22, s7
	s_lshl_b64 s[0:1], s[0:1], 3
	s_mul_i32 s2, s24, s7
	s_add_u32 s20, s20, s0
	s_mul_i32 s0, s2, 13
	s_addc_u32 s21, s21, s1
	s_ashr_i32 s1, s0, 31
	s_lshl_b64 s[0:1], s[0:1], 2
	s_add_u32 s3, s12, s0
	s_addc_u32 s12, s13, s1
	s_lshl_b32 s0, s24, 3
	s_ashr_i32 s1, s0, 31
	s_lshl_b64 s[0:1], s[0:1], 2
	s_add_u32 s33, s3, s0
	s_addc_u32 s35, s12, s1
	s_mul_i32 s1, s24, 0xffffffe8
	s_mul_hi_i32 s0, s24, 0xffffffe8
	s_add_u32 s3, s33, s1
	s_addc_u32 s12, s35, s0
	s_lshl_b64 s[0:1], s[24:25], 2
	s_add_u32 s13, s3, s0
	s_mul_i32 s0, s2, 10
	s_addc_u32 s22, s12, s1
	s_ashr_i32 s1, s0, 31
	s_lshl_b64 s[0:1], s[0:1], 3
	s_add_u32 s34, s10, s0
	s_mul_i32 s0, s24, 9
	s_addc_u32 s36, s11, s1
	s_ashr_i32 s1, s0, 31
	s_lshl_b64 s[0:1], s[0:1], 3
	s_add_u32 s38, s34, s0
	s_addc_u32 s37, s36, s1
	s_lshl_b32 s0, s6, 1
	s_ashr_i32 s1, s0, 31
	s_lshl_b64 s[0:1], s[0:1], 2
	s_add_u32 s2, s3, s0
	s_addc_u32 s3, s12, s1
	s_add_u32 s0, s13, s0
	s_addc_u32 s1, s22, s1
	s_load_dwordx2 s[10:11], s[0:1], 0x0
	s_waitcnt lgkmcnt(0)
	s_ashr_i32 s13, s11, 31
	s_mov_b32 s12, s11
	s_lshl_b64 s[0:1], s[12:13], 3
	s_add_u32 s0, s20, s0
	s_addc_u32 s1, s21, s1
	s_add_u32 s0, s0, -8
	s_addc_u32 s1, s1, -1
	s_load_dwordx2 s[22:23], s[0:1], 0x0
	s_load_dwordx2 s[20:21], s[2:3], 0x0
	s_waitcnt lgkmcnt(0)
	v_add_f64 v[1:2], s[22:23], s[22:23]
	s_add_i32 s11, s21, s20
	v_cmp_le_i32_e64 s[2:3], s11, v0
	v_cmp_gt_i32_e64 s[0:1], s11, v0
	s_and_saveexec_b64 s[22:23], s[0:1]
	s_cbranch_execz .LBB37_3
; %bb.1:
	s_load_dword s6, s[4:5], 0x64
	s_mov_b64 s[28:29], 0
	v_mov_b32_e32 v3, s37
	v_mov_b32_e32 v4, v0
	s_waitcnt lgkmcnt(0)
	s_and_b32 s6, s6, 0xffff
.LBB37_2:                               ; =>This Inner Loop Header: Depth=1
	v_add_u32_e32 v5, s10, v4
	v_ashrrev_i32_e32 v6, 31, v5
	v_add_u32_e32 v4, s6, v4
	v_lshlrev_b64 v[5:6], 3, v[5:6]
	v_cmp_le_i32_e32 vcc, s11, v4
	s_or_b64 s[28:29], vcc, s[28:29]
	v_add_co_u32_e32 v5, vcc, s38, v5
	v_addc_co_u32_e32 v6, vcc, v3, v6, vcc
	global_store_dwordx2 v[5:6], v[1:2], off
	s_andn2_b64 exec, exec, s[28:29]
	s_cbranch_execnz .LBB37_2
.LBB37_3:
	s_or_b64 exec, exec, s[22:23]
	s_load_dwordx2 s[22:23], s[4:5], 0x30
	s_mul_i32 s6, s8, s39
	s_mul_hi_u32 s28, s8, s7
	s_add_i32 s6, s28, s6
	s_mul_i32 s9, s9, s7
	s_add_i32 s9, s6, s9
	s_mul_i32 s8, s8, s7
	s_waitcnt lgkmcnt(0)
	s_ashr_i32 s29, s22, 31
	s_lshl_b64 s[8:9], s[8:9], 3
	s_mov_b32 s28, s22
	s_add_u32 s6, s26, s8
	s_addc_u32 s22, s27, s9
	s_lshl_b64 s[8:9], s[28:29], 3
	s_add_u32 s6, s6, s8
	v_mov_b32_e32 v3, 0
	s_addc_u32 s40, s22, s9
	v_mov_b32_e32 v4, 0
	v_cmp_gt_i32_e32 vcc, s20, v0
	s_and_saveexec_b64 s[26:27], vcc
	s_cbranch_execz .LBB37_7
; %bb.4:
	s_load_dword s8, s[4:5], 0x64
	v_add_u32_e32 v5, s10, v0
	v_mul_lo_u32 v5, s23, v5
	v_mov_b32_e32 v3, 0
	s_mov_b32 s30, 0x667f3bcd
	s_waitcnt lgkmcnt(0)
	s_and_b32 s22, s8, 0xffff
	v_mov_b32_e32 v4, 0
	s_mov_b64 s[28:29], 0
	s_mul_i32 s41, s23, s22
	v_mov_b32_e32 v6, s13
	v_mov_b32_e32 v7, s40
	s_mov_b32 s31, 0x3ff6a09e
	v_mov_b32_e32 v8, s36
	v_mov_b32_e32 v9, v0
.LBB37_5:                               ; =>This Inner Loop Header: Depth=1
	v_ashrrev_i32_e32 v11, 31, v5
	v_add_co_u32_e32 v10, vcc, s12, v5
	v_addc_co_u32_e32 v11, vcc, v11, v6, vcc
	v_lshlrev_b64 v[10:11], 3, v[10:11]
	v_add_u32_e32 v5, s41, v5
	v_add_co_u32_e32 v10, vcc, s6, v10
	v_addc_co_u32_e32 v11, vcc, v7, v11, vcc
	global_load_dwordx2 v[10:11], v[10:11], off offset:-8
	s_waitcnt vmcnt(0)
	v_div_scale_f64 v[12:13], s[8:9], s[30:31], s[30:31], v[10:11]
	v_rcp_f64_e32 v[14:15], v[12:13]
	v_fma_f64 v[16:17], -v[12:13], v[14:15], 1.0
	v_fma_f64 v[14:15], v[14:15], v[16:17], v[14:15]
	v_div_scale_f64 v[16:17], vcc, v[10:11], s[30:31], v[10:11]
	v_fma_f64 v[18:19], -v[12:13], v[14:15], 1.0
	v_fma_f64 v[14:15], v[14:15], v[18:19], v[14:15]
	v_mul_f64 v[18:19], v[16:17], v[14:15]
	v_fma_f64 v[12:13], -v[12:13], v[18:19], v[16:17]
	v_div_fmas_f64 v[12:13], v[12:13], v[14:15], v[18:19]
	v_div_fixup_f64 v[10:11], v[12:13], s[30:31], v[10:11]
	v_add_u32_e32 v12, s10, v9
	v_ashrrev_i32_e32 v13, 31, v12
	v_add_u32_e32 v9, s22, v9
	v_lshlrev_b64 v[12:13], 3, v[12:13]
	v_cmp_le_i32_e32 vcc, s20, v9
	s_or_b64 s[28:29], vcc, s[28:29]
	v_add_co_u32_e32 v12, vcc, s34, v12
	v_cmp_lt_f64_e64 s[8:9], v[3:4], |v[10:11]|
	v_and_b32_e32 v14, 0x7fffffff, v11
	v_addc_co_u32_e32 v13, vcc, v8, v13, vcc
	global_store_dwordx2 v[12:13], v[10:11], off
	v_cndmask_b32_e64 v4, v4, v14, s[8:9]
	v_cndmask_b32_e64 v3, v3, v10, s[8:9]
	s_andn2_b64 exec, exec, s[28:29]
	s_cbranch_execnz .LBB37_5
; %bb.6:
	s_or_b64 exec, exec, s[28:29]
.LBB37_7:
	s_or_b64 exec, exec, s[26:27]
	v_cmp_le_i32_e32 vcc, s21, v0
                                        ; implicit-def: $sgpr26_sgpr27
	s_and_saveexec_b64 s[8:9], vcc
	s_xor_b64 s[8:9], exec, s[8:9]
; %bb.8:
	s_add_u32 s26, s4, 0x58
	s_addc_u32 s27, s5, 0
; %bb.9:
	s_or_saveexec_b64 s[8:9], s[8:9]
	v_mov_b32_e32 v7, s26
	v_mov_b32_e32 v8, s27
	s_xor_b64 exec, exec, s[8:9]
	s_cbranch_execz .LBB37_13
; %bb.10:
	s_load_dword s13, s[4:5], 0x64
	v_add_u32_e32 v5, s12, v0
	v_mul_lo_u32 v5, s23, v5
	s_add_u32 s26, s4, 0x58
	s_addc_u32 s27, s5, 0
	s_waitcnt lgkmcnt(0)
	s_and_b32 s13, s13, 0xffff
	s_mov_b32 s28, 0x667f3bcd
	s_mul_i32 s20, s23, s13
	s_mov_b64 s[22:23], 0
	v_mov_b32_e32 v6, s40
	s_mov_b32 s29, 0x3ff6a09e
	v_mov_b32_e32 v7, s36
	v_mov_b32_e32 v8, v0
.LBB37_11:                              ; =>This Inner Loop Header: Depth=1
	v_add_u32_e32 v9, s12, v5
	v_ashrrev_i32_e32 v10, 31, v9
	v_lshlrev_b64 v[9:10], 3, v[9:10]
	v_add_u32_e32 v5, s20, v5
	v_add_co_u32_e32 v9, vcc, s6, v9
	v_addc_co_u32_e32 v10, vcc, v6, v10, vcc
	global_load_dwordx2 v[9:10], v[9:10], off
	s_waitcnt vmcnt(0)
	v_div_scale_f64 v[11:12], s[4:5], s[28:29], s[28:29], v[9:10]
	v_rcp_f64_e32 v[13:14], v[11:12]
	v_fma_f64 v[15:16], -v[11:12], v[13:14], 1.0
	v_fma_f64 v[13:14], v[13:14], v[15:16], v[13:14]
	v_div_scale_f64 v[15:16], vcc, v[9:10], s[28:29], v[9:10]
	v_fma_f64 v[17:18], -v[11:12], v[13:14], 1.0
	v_fma_f64 v[13:14], v[13:14], v[17:18], v[13:14]
	v_mul_f64 v[17:18], v[15:16], v[13:14]
	v_fma_f64 v[11:12], -v[11:12], v[17:18], v[15:16]
	v_div_fmas_f64 v[11:12], v[11:12], v[13:14], v[17:18]
	v_div_fixup_f64 v[9:10], v[11:12], s[28:29], v[9:10]
	v_add_u32_e32 v11, s12, v8
	v_ashrrev_i32_e32 v12, 31, v11
	v_add_u32_e32 v8, s13, v8
	v_lshlrev_b64 v[11:12], 3, v[11:12]
	v_cmp_le_i32_e32 vcc, s21, v8
	s_or_b64 s[22:23], vcc, s[22:23]
	v_add_co_u32_e32 v11, vcc, s34, v11
	v_cmp_lt_f64_e64 s[4:5], v[3:4], |v[9:10]|
	v_and_b32_e32 v13, 0x7fffffff, v10
	v_addc_co_u32_e32 v12, vcc, v7, v12, vcc
	global_store_dwordx2 v[11:12], v[9:10], off
	v_cndmask_b32_e64 v4, v4, v13, s[4:5]
	v_cndmask_b32_e64 v3, v3, v9, s[4:5]
	s_andn2_b64 exec, exec, s[22:23]
	s_cbranch_execnz .LBB37_11
; %bb.12:
	s_or_b64 exec, exec, s[22:23]
	v_mov_b32_e32 v7, s26
	v_mov_b32_e32 v8, s27
.LBB37_13:
	s_or_b64 exec, exec, s[8:9]
                                        ; implicit-def: $vgpr10
                                        ; implicit-def: $vgpr9
	s_and_saveexec_b64 s[4:5], s[2:3]
	s_xor_b64 s[2:3], exec, s[4:5]
	s_cbranch_execz .LBB37_15
; %bb.14:
	global_load_ushort v10, v[7:8], off offset:12
                                        ; implicit-def: $vgpr7_vgpr8
	s_waitcnt vmcnt(0)
	v_and_b32_e32 v9, 0xffff, v10
.LBB37_15:
	s_or_saveexec_b64 s[4:5], s[2:3]
	v_mov_b32_e32 v5, 0
	v_mov_b32_e32 v6, 0
	s_xor_b64 exec, exec, s[4:5]
	s_cbranch_execz .LBB37_19
; %bb.16:
	global_load_ushort v10, v[7:8], off offset:12
	s_mul_i32 s3, s18, s39
	s_mul_hi_u32 s8, s18, s7
	s_mul_i32 s9, s19, s7
	s_add_i32 s3, s8, s3
	s_mul_i32 s2, s18, s7
	s_add_i32 s3, s3, s9
	s_lshl_b64 s[2:3], s[2:3], 3
	s_add_u32 s8, s16, s2
	v_mov_b32_e32 v5, 0
	s_addc_u32 s2, s17, s3
	v_mov_b32_e32 v6, 0
	s_mov_b64 s[6:7], 0
	v_mov_b32_e32 v7, s2
	v_mov_b32_e32 v8, v0
	s_waitcnt vmcnt(0)
	v_and_b32_e32 v9, 0xffff, v10
.LBB37_17:                              ; =>This Inner Loop Header: Depth=1
	v_add_u32_e32 v11, s10, v8
	v_ashrrev_i32_e32 v12, 31, v11
	v_lshlrev_b64 v[11:12], 3, v[11:12]
	v_add_u32_e32 v8, v8, v9
	v_add_co_u32_e32 v11, vcc, s8, v11
	v_addc_co_u32_e32 v12, vcc, v7, v12, vcc
	global_load_dwordx2 v[11:12], v[11:12], off
	v_cmp_le_i32_e64 s[2:3], s11, v8
	s_or_b64 s[6:7], s[2:3], s[6:7]
	s_waitcnt vmcnt(0)
	v_cmp_lt_f64_e64 vcc, v[5:6], |v[11:12]|
	v_and_b32_e32 v13, 0x7fffffff, v12
	v_cndmask_b32_e32 v6, v6, v13, vcc
	v_cndmask_b32_e32 v5, v5, v11, vcc
	s_andn2_b64 exec, exec, s[6:7]
	s_cbranch_execnz .LBB37_17
; %bb.18:
	s_or_b64 exec, exec, s[6:7]
.LBB37_19:
	s_or_b64 exec, exec, s[4:5]
	v_lshlrev_b32_e32 v7, 3, v0
	v_cmp_lt_u16_e32 vcc, 1, v10
	ds_write2st64_b64 v7, v[5:6], v[3:4] offset1:8
	s_waitcnt vmcnt(0) lgkmcnt(0)
	s_barrier
	s_and_saveexec_b64 s[4:5], vcc
	s_cbranch_execz .LBB37_24
; %bb.20:
	v_or_b32_e32 v8, 0x1000, v7
	s_mov_b64 s[6:7], 0
	v_mov_b32_e32 v10, v9
	s_branch .LBB37_22
.LBB37_21:                              ;   in Loop: Header=BB37_22 Depth=1
	s_or_b64 exec, exec, s[8:9]
	v_cmp_gt_u32_e32 vcc, 4, v10
	s_or_b64 s[6:7], vcc, s[6:7]
	v_mov_b32_e32 v10, v11
	s_waitcnt lgkmcnt(0)
	s_barrier
	s_andn2_b64 exec, exec, s[6:7]
	s_cbranch_execz .LBB37_24
.LBB37_22:                              ; =>This Inner Loop Header: Depth=1
	v_lshrrev_b32_e32 v11, 1, v10
	v_cmp_lt_u32_e32 vcc, v0, v11
	s_and_saveexec_b64 s[8:9], vcc
	s_cbranch_execz .LBB37_21
; %bb.23:                               ;   in Loop: Header=BB37_22 Depth=1
	v_lshlrev_b32_e32 v12, 3, v11
	v_add_u32_e32 v13, v7, v12
	v_add_u32_e32 v14, v8, v12
	ds_read_b64 v[12:13], v13
	ds_read_b64 v[14:15], v14
	s_waitcnt lgkmcnt(1)
	v_cmp_lt_f64_e32 vcc, v[5:6], v[12:13]
	s_waitcnt lgkmcnt(0)
	v_cmp_lt_f64_e64 s[2:3], v[3:4], v[14:15]
	v_cndmask_b32_e32 v6, v6, v13, vcc
	v_cndmask_b32_e64 v4, v4, v15, s[2:3]
	v_cndmask_b32_e32 v5, v5, v12, vcc
	v_cndmask_b32_e64 v3, v3, v14, s[2:3]
	ds_write_b64 v7, v[5:6]
	ds_write_b64 v8, v[3:4]
	s_branch .LBB37_21
.LBB37_24:
	s_or_b64 exec, exec, s[4:5]
	s_and_saveexec_b64 s[2:3], s[0:1]
	s_cbranch_execz .LBB37_29
; %bb.25:
	v_mov_b32_e32 v3, 0
	ds_read2st64_b64 v[3:6], v3 offset1:8
	v_ldexp_f64 v[7:8], s[14:15], 3
	s_mul_i32 s1, s24, 0xffffffd8
	s_mul_hi_i32 s0, s24, 0xffffffd8
	s_add_u32 s2, s38, s1
	s_waitcnt lgkmcnt(0)
	v_cmp_lt_f64_e32 vcc, v[3:4], v[5:6]
	s_addc_u32 s4, s37, s0
	s_lshl_b64 s[0:1], s[24:25], 3
	s_add_u32 s3, s2, s0
	s_addc_u32 s5, s4, s1
	s_mov_b64 s[0:1], 0
	v_cndmask_b32_e32 v4, v4, v6, vcc
	v_cndmask_b32_e32 v3, v3, v5, vcc
	v_mul_f64 v[3:4], v[7:8], v[3:4]
	v_mov_b32_e32 v5, s4
	v_mov_b32_e32 v6, s5
	;; [unrolled: 1-line block ×3, first 2 shown]
.LBB37_26:                              ; =>This Inner Loop Header: Depth=1
	v_add_u32_e32 v10, s10, v7
	v_ashrrev_i32_e32 v11, 31, v10
	v_add_u32_e32 v7, v7, v9
	v_lshlrev_b64 v[10:11], 3, v[10:11]
	v_cmp_le_i32_e32 vcc, s11, v7
	s_or_b64 s[0:1], vcc, s[0:1]
	v_add_co_u32_e32 v12, vcc, s2, v10
	v_addc_co_u32_e32 v13, vcc, v5, v11, vcc
	v_add_co_u32_e32 v10, vcc, s3, v10
	v_addc_co_u32_e32 v11, vcc, v6, v11, vcc
	global_store_dwordx2 v[12:13], v[3:4], off
	global_store_dwordx2 v[10:11], v[3:4], off
	s_andn2_b64 exec, exec, s[0:1]
	s_cbranch_execnz .LBB37_26
; %bb.27:
	s_or_b64 exec, exec, s[0:1]
	s_mov_b64 s[0:1], 0
	v_mov_b32_e32 v5, s36
	v_mov_b32_e32 v6, s35
.LBB37_28:                              ; =>This Inner Loop Header: Depth=1
	v_add_u32_e32 v7, s10, v0
	v_ashrrev_i32_e32 v8, 31, v7
	v_lshlrev_b64 v[10:11], 3, v[7:8]
	v_add_u32_e32 v0, v0, v9
	v_add_co_u32_e32 v10, vcc, s34, v10
	v_addc_co_u32_e32 v11, vcc, v5, v11, vcc
	global_load_dwordx2 v[10:11], v[10:11], off
	v_lshlrev_b64 v[7:8], 2, v[7:8]
	v_cmp_le_i32_e32 vcc, s11, v0
	s_or_b64 s[0:1], vcc, s[0:1]
	v_add_co_u32_e32 v7, vcc, s33, v7
	v_addc_co_u32_e32 v8, vcc, v6, v8, vcc
	s_waitcnt vmcnt(0)
	v_mul_f64 v[10:11], v[1:2], v[10:11]
	v_cmp_nle_f64_e64 s[2:3], |v[10:11]|, v[3:4]
	v_cndmask_b32_e64 v10, 0, 1, s[2:3]
	global_store_dword v[7:8], v10, off
	s_andn2_b64 exec, exec, s[0:1]
	s_cbranch_execnz .LBB37_28
.LBB37_29:
	s_endpgm
	.section	.rodata,"a",@progbits
	.p2align	6, 0x0
	.amdhsa_kernel _ZN9rocsolver6v33100L37stedc_mergePrepare_DeflateZero_kernelIdEEviiPT_lS3_lS3_iilS3_PiS2_
		.amdhsa_group_segment_fixed_size 8192
		.amdhsa_private_segment_fixed_size 0
		.amdhsa_kernarg_size 344
		.amdhsa_user_sgpr_count 6
		.amdhsa_user_sgpr_private_segment_buffer 1
		.amdhsa_user_sgpr_dispatch_ptr 0
		.amdhsa_user_sgpr_queue_ptr 0
		.amdhsa_user_sgpr_kernarg_segment_ptr 1
		.amdhsa_user_sgpr_dispatch_id 0
		.amdhsa_user_sgpr_flat_scratch_init 0
		.amdhsa_user_sgpr_private_segment_size 0
		.amdhsa_uses_dynamic_stack 0
		.amdhsa_system_sgpr_private_segment_wavefront_offset 0
		.amdhsa_system_sgpr_workgroup_id_x 1
		.amdhsa_system_sgpr_workgroup_id_y 1
		.amdhsa_system_sgpr_workgroup_id_z 0
		.amdhsa_system_sgpr_workgroup_info 0
		.amdhsa_system_vgpr_workitem_id 0
		.amdhsa_next_free_vgpr 20
		.amdhsa_next_free_sgpr 42
		.amdhsa_reserve_vcc 1
		.amdhsa_reserve_flat_scratch 0
		.amdhsa_float_round_mode_32 0
		.amdhsa_float_round_mode_16_64 0
		.amdhsa_float_denorm_mode_32 3
		.amdhsa_float_denorm_mode_16_64 3
		.amdhsa_dx10_clamp 1
		.amdhsa_ieee_mode 1
		.amdhsa_fp16_overflow 0
		.amdhsa_exception_fp_ieee_invalid_op 0
		.amdhsa_exception_fp_denorm_src 0
		.amdhsa_exception_fp_ieee_div_zero 0
		.amdhsa_exception_fp_ieee_overflow 0
		.amdhsa_exception_fp_ieee_underflow 0
		.amdhsa_exception_fp_ieee_inexact 0
		.amdhsa_exception_int_div_zero 0
	.end_amdhsa_kernel
	.section	.text._ZN9rocsolver6v33100L37stedc_mergePrepare_DeflateZero_kernelIdEEviiPT_lS3_lS3_iilS3_PiS2_,"axG",@progbits,_ZN9rocsolver6v33100L37stedc_mergePrepare_DeflateZero_kernelIdEEviiPT_lS3_lS3_iilS3_PiS2_,comdat
.Lfunc_end37:
	.size	_ZN9rocsolver6v33100L37stedc_mergePrepare_DeflateZero_kernelIdEEviiPT_lS3_lS3_iilS3_PiS2_, .Lfunc_end37-_ZN9rocsolver6v33100L37stedc_mergePrepare_DeflateZero_kernelIdEEviiPT_lS3_lS3_iilS3_PiS2_
                                        ; -- End function
	.set _ZN9rocsolver6v33100L37stedc_mergePrepare_DeflateZero_kernelIdEEviiPT_lS3_lS3_iilS3_PiS2_.num_vgpr, 20
	.set _ZN9rocsolver6v33100L37stedc_mergePrepare_DeflateZero_kernelIdEEviiPT_lS3_lS3_iilS3_PiS2_.num_agpr, 0
	.set _ZN9rocsolver6v33100L37stedc_mergePrepare_DeflateZero_kernelIdEEviiPT_lS3_lS3_iilS3_PiS2_.numbered_sgpr, 42
	.set _ZN9rocsolver6v33100L37stedc_mergePrepare_DeflateZero_kernelIdEEviiPT_lS3_lS3_iilS3_PiS2_.num_named_barrier, 0
	.set _ZN9rocsolver6v33100L37stedc_mergePrepare_DeflateZero_kernelIdEEviiPT_lS3_lS3_iilS3_PiS2_.private_seg_size, 0
	.set _ZN9rocsolver6v33100L37stedc_mergePrepare_DeflateZero_kernelIdEEviiPT_lS3_lS3_iilS3_PiS2_.uses_vcc, 1
	.set _ZN9rocsolver6v33100L37stedc_mergePrepare_DeflateZero_kernelIdEEviiPT_lS3_lS3_iilS3_PiS2_.uses_flat_scratch, 0
	.set _ZN9rocsolver6v33100L37stedc_mergePrepare_DeflateZero_kernelIdEEviiPT_lS3_lS3_iilS3_PiS2_.has_dyn_sized_stack, 0
	.set _ZN9rocsolver6v33100L37stedc_mergePrepare_DeflateZero_kernelIdEEviiPT_lS3_lS3_iilS3_PiS2_.has_recursion, 0
	.set _ZN9rocsolver6v33100L37stedc_mergePrepare_DeflateZero_kernelIdEEviiPT_lS3_lS3_iilS3_PiS2_.has_indirect_call, 0
	.section	.AMDGPU.csdata,"",@progbits
; Kernel info:
; codeLenInByte = 1860
; TotalNumSgprs: 46
; NumVgprs: 20
; ScratchSize: 0
; MemoryBound: 0
; FloatMode: 240
; IeeeMode: 1
; LDSByteSize: 8192 bytes/workgroup (compile time only)
; SGPRBlocks: 5
; VGPRBlocks: 4
; NumSGPRsForWavesPerEU: 46
; NumVGPRsForWavesPerEU: 20
; Occupancy: 10
; WaveLimiterHint : 1
; COMPUTE_PGM_RSRC2:SCRATCH_EN: 0
; COMPUTE_PGM_RSRC2:USER_SGPR: 6
; COMPUTE_PGM_RSRC2:TRAP_HANDLER: 0
; COMPUTE_PGM_RSRC2:TGID_X_EN: 1
; COMPUTE_PGM_RSRC2:TGID_Y_EN: 1
; COMPUTE_PGM_RSRC2:TGID_Z_EN: 0
; COMPUTE_PGM_RSRC2:TIDIG_COMP_CNT: 0
	.section	.text._ZN9rocsolver6v33100L31stedc_mergePrepare_SortD_kernelIdEEviiPT_lS3_Pi,"axG",@progbits,_ZN9rocsolver6v33100L31stedc_mergePrepare_SortD_kernelIdEEviiPT_lS3_Pi,comdat
	.globl	_ZN9rocsolver6v33100L31stedc_mergePrepare_SortD_kernelIdEEviiPT_lS3_Pi ; -- Begin function _ZN9rocsolver6v33100L31stedc_mergePrepare_SortD_kernelIdEEviiPT_lS3_Pi
	.p2align	8
	.type	_ZN9rocsolver6v33100L31stedc_mergePrepare_SortD_kernelIdEEviiPT_lS3_Pi,@function
_ZN9rocsolver6v33100L31stedc_mergePrepare_SortD_kernelIdEEviiPT_lS3_Pi: ; @_ZN9rocsolver6v33100L31stedc_mergePrepare_SortD_kernelIdEEviiPT_lS3_Pi
; %bb.0:
	s_load_dword s28, s[4:5], 0x4
	s_load_dwordx8 s[20:27], s[4:5], 0x8
	s_load_dword s10, s[4:5], 0x34
	s_ashr_i32 s0, s7, 31
	s_waitcnt lgkmcnt(0)
	s_ashr_i32 s29, s28, 31
	s_mul_hi_u32 s1, s22, s7
	s_mul_i32 s0, s22, s0
	s_add_i32 s0, s1, s0
	s_mul_i32 s1, s23, s7
	s_add_i32 s1, s0, s1
	s_mul_i32 s0, s22, s7
	s_lshl_b64 s[0:1], s[0:1], 3
	s_mul_i32 s36, s7, s28
	s_add_u32 s38, s20, s0
	s_mul_i32 s0, s36, 13
	s_addc_u32 s39, s21, s1
	s_ashr_i32 s1, s0, 31
	s_lshl_b64 s[0:1], s[0:1], 2
	s_add_u32 s2, s26, s0
	s_addc_u32 s3, s27, s1
	s_lshl_b32 s0, s28, 3
	s_ashr_i32 s1, s0, 31
	s_lshl_b64 s[0:1], s[0:1], 2
	s_add_u32 s40, s2, s0
	s_addc_u32 s41, s3, s1
	s_lshl_b64 s[0:1], s[28:29], 2
	s_sub_u32 s2, 0, s0
	s_subb_u32 s3, 0, s1
	s_add_u32 s29, s40, s2
	s_addc_u32 s33, s41, s3
	s_mul_i32 s3, s28, 12
	s_mul_hi_i32 s2, s28, 12
	s_add_u32 s34, s29, s3
	s_addc_u32 s35, s33, s2
	s_mul_i32 s3, s28, 0xffffffec
	s_mul_hi_i32 s2, s28, 0xffffffec
	s_add_u32 s4, s34, s3
	s_addc_u32 s5, s35, s2
	s_add_u32 s8, s4, s0
	s_addc_u32 s9, s5, s1
	s_ashr_i32 s7, s6, 31
	s_lshl_b64 s[22:23], s[6:7], 3
	s_add_u32 s2, s38, s22
	s_addc_u32 s3, s39, s23
	s_lshl_b64 s[0:1], s[6:7], 2
	s_add_u32 s4, s4, s0
	s_addc_u32 s5, s5, s1
	s_add_u32 s8, s8, s0
	s_addc_u32 s9, s9, s1
	s_and_b32 s37, s10, 0xffff
	s_lshl_b32 s42, s37, 3
	v_cvt_f32_u32_e32 v1, s42
	s_load_dword s43, s[4:5], 0x0
	s_sub_i32 s4, 0, s42
	s_load_dwordx2 s[26:27], s[2:3], 0x0
	s_load_dword s7, s[8:9], 0x0
	v_rcp_iflag_f32_e32 v1, v1
	s_waitcnt lgkmcnt(0)
	s_add_i32 s2, s43, -1
	s_ashr_i32 s3, s2, 31
	v_mul_f32_e32 v1, 0x4f7ffffe, v1
	v_cvt_u32_f32_e32 v1, v1
	s_abs_i32 s2, s2
	v_readfirstlane_b32 s5, v1
	s_mul_i32 s4, s4, s5
	s_mul_hi_u32 s4, s5, s4
	s_add_i32 s5, s5, s4
	s_mul_hi_u32 s4, s2, s5
	s_mul_i32 s5, s4, s42
	s_sub_i32 s2, s2, s5
	s_add_i32 s5, s4, 1
	s_sub_i32 s8, s2, s42
	s_cmp_ge_u32 s2, s42
	s_cselect_b32 s4, s5, s4
	s_cselect_b32 s2, s8, s2
	s_add_i32 s5, s4, 1
	s_cmp_ge_u32 s2, s42
	s_cselect_b32 s2, s5, s4
	s_xor_b32 s2, s2, s3
	s_sub_i32 s2, s2, s3
	s_cmp_lt_i32 s2, 0
	s_cbranch_scc1 .LBB38_35
; %bb.1:
	s_add_u32 s0, s40, s0
	s_addc_u32 s1, s41, s1
	s_load_dword s44, s[0:1], 0x0
	s_lshl_b32 s0, s37, 1
	s_add_i32 s46, s7, s0
	s_mul_i32 s0, s37, 3
	s_add_i32 s47, s7, s0
	s_lshl_b32 s0, s37, 2
	s_add_i32 s48, s7, s0
	s_mul_i32 s0, s37, 5
	v_mov_b32_e32 v1, 0
	s_add_i32 s49, s7, s0
	s_mul_i32 s0, s37, 6
	v_mov_b32_e32 v2, v1
	v_mov_b32_e32 v3, v1
	;; [unrolled: 1-line block ×7, first 2 shown]
	s_add_i32 s50, s7, s0
	s_mul_i32 s0, s37, 7
	v_mov_b32_e32 v9, v8
	s_add_i32 s45, s2, 1
	s_add_i32 s51, s7, s0
	;; [unrolled: 1-line block ×3, first 2 shown]
	v_mov_b32_e32 v10, v1
	v_mov_b32_e32 v11, v1
	;; [unrolled: 1-line block ×27, first 2 shown]
	s_branch .LBB38_3
.LBB38_2:                               ;   in Loop: Header=BB38_3 Depth=1
	s_or_b64 exec, exec, s[8:9]
	s_add_i32 s45, s45, -1
	s_cmp_eq_u32 s45, 0
	v_add_u32_e32 v42, s42, v42
	s_cbranch_scc1 .LBB38_36
.LBB38_3:                               ; =>This Inner Loop Header: Depth=1
	v_cmp_gt_i32_e64 s[14:15], s43, v42
	v_add_u32_e32 v40, s7, v42
	s_and_saveexec_b64 s[0:1], s[14:15]
	s_cbranch_execz .LBB38_5
; %bb.4:                                ;   in Loop: Header=BB38_3 Depth=1
	v_ashrrev_i32_e32 v41, 31, v40
	s_waitcnt vmcnt(1)
	v_lshlrev_b64 v[10:11], 2, v[40:41]
	s_waitcnt vmcnt(0)
	v_mov_b32_e32 v2, s41
	v_add_co_u32_e32 v26, vcc, s40, v10
	v_addc_co_u32_e32 v27, vcc, v2, v11, vcc
	v_lshlrev_b64 v[10:11], 3, v[40:41]
	v_mov_b32_e32 v2, s39
	v_add_co_u32_e32 v28, vcc, s38, v10
	v_addc_co_u32_e32 v29, vcc, v2, v11, vcc
	global_load_dwordx2 v[10:11], v[28:29], off
	global_load_dword v2, v[26:27], off
.LBB38_5:                               ;   in Loop: Header=BB38_3 Depth=1
	s_or_b64 exec, exec, s[0:1]
	v_add_u32_e32 v26, s37, v42
	v_cmp_gt_i32_e64 s[12:13], s43, v26
	v_add_u32_e32 v38, s52, v42
	s_and_saveexec_b64 s[0:1], s[12:13]
	s_cbranch_execz .LBB38_7
; %bb.6:                                ;   in Loop: Header=BB38_3 Depth=1
	v_ashrrev_i32_e32 v39, 31, v38
	s_waitcnt vmcnt(1)
	v_lshlrev_b64 v[12:13], 2, v[38:39]
	s_waitcnt vmcnt(0)
	v_mov_b32_e32 v3, s41
	v_add_co_u32_e32 v27, vcc, s40, v12
	v_addc_co_u32_e32 v28, vcc, v3, v13, vcc
	v_lshlrev_b64 v[12:13], 3, v[38:39]
	v_mov_b32_e32 v3, s39
	v_add_co_u32_e32 v29, vcc, s38, v12
	v_addc_co_u32_e32 v30, vcc, v3, v13, vcc
	global_load_dwordx2 v[12:13], v[29:30], off
	global_load_dword v3, v[27:28], off
.LBB38_7:                               ;   in Loop: Header=BB38_3 Depth=1
	s_or_b64 exec, exec, s[0:1]
	v_add_u32_e32 v26, s37, v26
	;; [unrolled: 21-line block ×3, first 2 shown]
	v_cmp_gt_i32_e64 s[8:9], s43, v26
	v_add_u32_e32 v34, s47, v42
	s_and_saveexec_b64 s[0:1], s[8:9]
	s_cbranch_execz .LBB38_11
; %bb.10:                               ;   in Loop: Header=BB38_3 Depth=1
	v_ashrrev_i32_e32 v35, 31, v34
	s_waitcnt vmcnt(1)
	v_lshlrev_b64 v[16:17], 2, v[34:35]
	s_waitcnt vmcnt(0)
	v_mov_b32_e32 v5, s41
	v_add_co_u32_e32 v27, vcc, s40, v16
	v_addc_co_u32_e32 v28, vcc, v5, v17, vcc
	v_lshlrev_b64 v[16:17], 3, v[34:35]
	v_mov_b32_e32 v5, s39
	v_add_co_u32_e32 v29, vcc, s38, v16
	v_addc_co_u32_e32 v30, vcc, v5, v17, vcc
	global_load_dwordx2 v[16:17], v[29:30], off
	global_load_dword v5, v[27:28], off
.LBB38_11:                              ;   in Loop: Header=BB38_3 Depth=1
	s_or_b64 exec, exec, s[0:1]
	v_add_u32_e32 v26, s37, v26
	v_cmp_gt_i32_e64 s[4:5], s43, v26
	v_add_u32_e32 v32, s48, v42
	s_and_saveexec_b64 s[0:1], s[4:5]
	s_cbranch_execz .LBB38_13
; %bb.12:                               ;   in Loop: Header=BB38_3 Depth=1
	v_ashrrev_i32_e32 v33, 31, v32
	s_waitcnt vmcnt(1)
	v_lshlrev_b64 v[18:19], 2, v[32:33]
	s_waitcnt vmcnt(0)
	v_mov_b32_e32 v6, s41
	v_add_co_u32_e32 v27, vcc, s40, v18
	v_addc_co_u32_e32 v28, vcc, v6, v19, vcc
	v_lshlrev_b64 v[18:19], 3, v[32:33]
	v_mov_b32_e32 v6, s39
	v_add_co_u32_e32 v29, vcc, s38, v18
	v_addc_co_u32_e32 v30, vcc, v6, v19, vcc
	global_load_dwordx2 v[18:19], v[29:30], off
	global_load_dword v6, v[27:28], off
.LBB38_13:                              ;   in Loop: Header=BB38_3 Depth=1
	s_or_b64 exec, exec, s[0:1]
	v_add_u32_e32 v26, s37, v26
	;; [unrolled: 21-line block ×4, first 2 shown]
	v_cmp_gt_i32_e32 vcc, s43, v26
	v_add_u32_e32 v26, s51, v42
	s_and_saveexec_b64 s[18:19], vcc
	s_cbranch_execnz .LBB38_26
; %bb.18:                               ;   in Loop: Header=BB38_3 Depth=1
	s_or_b64 exec, exec, s[18:19]
	s_and_saveexec_b64 s[30:31], s[14:15]
	s_cbranch_execnz .LBB38_27
.LBB38_19:                              ;   in Loop: Header=BB38_3 Depth=1
	s_or_b64 exec, exec, s[30:31]
	s_and_saveexec_b64 s[20:21], s[12:13]
	s_cbranch_execnz .LBB38_28
.LBB38_20:                              ;   in Loop: Header=BB38_3 Depth=1
	s_or_b64 exec, exec, s[20:21]
	s_and_saveexec_b64 s[18:19], s[10:11]
	s_cbranch_execnz .LBB38_29
.LBB38_21:                              ;   in Loop: Header=BB38_3 Depth=1
	s_or_b64 exec, exec, s[18:19]
	s_and_saveexec_b64 s[16:17], s[8:9]
	s_cbranch_execnz .LBB38_30
.LBB38_22:                              ;   in Loop: Header=BB38_3 Depth=1
	s_or_b64 exec, exec, s[16:17]
	s_and_saveexec_b64 s[14:15], s[4:5]
	s_cbranch_execnz .LBB38_31
.LBB38_23:                              ;   in Loop: Header=BB38_3 Depth=1
	s_or_b64 exec, exec, s[14:15]
	s_and_saveexec_b64 s[12:13], s[2:3]
	s_cbranch_execnz .LBB38_32
.LBB38_24:                              ;   in Loop: Header=BB38_3 Depth=1
	s_or_b64 exec, exec, s[12:13]
	s_and_saveexec_b64 s[10:11], s[0:1]
	s_cbranch_execnz .LBB38_33
.LBB38_25:                              ;   in Loop: Header=BB38_3 Depth=1
	s_or_b64 exec, exec, s[10:11]
	s_and_saveexec_b64 s[8:9], vcc
	s_cbranch_execz .LBB38_2
	s_branch .LBB38_34
.LBB38_26:                              ;   in Loop: Header=BB38_3 Depth=1
	v_ashrrev_i32_e32 v27, 31, v26
	s_waitcnt vmcnt(1)
	v_lshlrev_b64 v[24:25], 2, v[26:27]
	s_waitcnt vmcnt(0)
	v_mov_b32_e32 v9, s41
	v_add_co_u32_e64 v46, s[16:17], s40, v24
	v_addc_co_u32_e64 v47, s[16:17], v9, v25, s[16:17]
	v_lshlrev_b64 v[24:25], 3, v[26:27]
	v_mov_b32_e32 v9, s39
	v_add_co_u32_e64 v24, s[16:17], s38, v24
	v_addc_co_u32_e64 v25, s[16:17], v9, v25, s[16:17]
	global_load_dwordx2 v[24:25], v[24:25], off
	s_nop 0
	global_load_dword v9, v[46:47], off
	s_or_b64 exec, exec, s[18:19]
	s_and_saveexec_b64 s[30:31], s[14:15]
	s_cbranch_execz .LBB38_19
.LBB38_27:                              ;   in Loop: Header=BB38_3 Depth=1
	s_waitcnt vmcnt(1)
	v_cmp_u_f64_e64 s[16:17], v[10:11], v[10:11]
	v_cmp_gt_f64_e64 s[14:15], s[26:27], v[10:11]
	s_waitcnt vmcnt(0)
	v_cmp_lt_i32_e64 s[18:19], 0, v2
	v_addc_co_u32_e64 v1, s[18:19], 0, v1, s[18:19]
	s_waitcnt lgkmcnt(0)
	v_cmp_eq_u32_e64 s[20:21], s44, v2
	v_cmp_lt_i32_e64 s[18:19], s44, v2
	v_addc_co_u32_e64 v43, s[16:17], 0, v43, s[16:17]
	v_cmp_eq_f64_e64 s[16:17], s[26:27], v[10:11]
	s_and_b64 s[14:15], s[20:21], s[14:15]
	s_or_b64 s[14:15], s[18:19], s[14:15]
	v_addc_co_u32_e64 v45, s[14:15], 0, v45, s[14:15]
	v_cmp_gt_i32_e64 s[14:15], s6, v40
	s_and_b64 s[16:17], s[20:21], s[16:17]
	s_and_b64 s[14:15], s[16:17], s[14:15]
	v_addc_co_u32_e64 v44, s[14:15], 0, v44, s[14:15]
	s_or_b64 exec, exec, s[30:31]
	s_and_saveexec_b64 s[20:21], s[12:13]
	s_cbranch_execz .LBB38_20
.LBB38_28:                              ;   in Loop: Header=BB38_3 Depth=1
	s_waitcnt vmcnt(1)
	v_cmp_u_f64_e64 s[14:15], v[12:13], v[12:13]
	v_cmp_gt_f64_e64 s[12:13], s[26:27], v[12:13]
	s_waitcnt vmcnt(0)
	v_cmp_lt_i32_e64 s[16:17], 0, v3
	v_addc_co_u32_e64 v1, s[16:17], 0, v1, s[16:17]
	s_waitcnt lgkmcnt(0)
	v_cmp_eq_u32_e64 s[18:19], s44, v3
	v_cmp_lt_i32_e64 s[16:17], s44, v3
	v_addc_co_u32_e64 v43, s[14:15], 0, v43, s[14:15]
	v_cmp_eq_f64_e64 s[14:15], s[26:27], v[12:13]
	s_and_b64 s[12:13], s[18:19], s[12:13]
	s_or_b64 s[12:13], s[16:17], s[12:13]
	v_addc_co_u32_e64 v45, s[12:13], 0, v45, s[12:13]
	v_cmp_gt_i32_e64 s[12:13], s6, v38
	s_and_b64 s[14:15], s[18:19], s[14:15]
	s_and_b64 s[12:13], s[14:15], s[12:13]
	v_addc_co_u32_e64 v44, s[12:13], 0, v44, s[12:13]
	s_or_b64 exec, exec, s[20:21]
	s_and_saveexec_b64 s[18:19], s[10:11]
	s_cbranch_execz .LBB38_21
.LBB38_29:                              ;   in Loop: Header=BB38_3 Depth=1
	s_waitcnt vmcnt(1)
	v_cmp_u_f64_e64 s[12:13], v[14:15], v[14:15]
	v_cmp_gt_f64_e64 s[10:11], s[26:27], v[14:15]
	s_waitcnt vmcnt(0)
	v_cmp_lt_i32_e64 s[14:15], 0, v4
	v_addc_co_u32_e64 v1, s[14:15], 0, v1, s[14:15]
	s_waitcnt lgkmcnt(0)
	v_cmp_eq_u32_e64 s[16:17], s44, v4
	v_cmp_lt_i32_e64 s[14:15], s44, v4
	v_addc_co_u32_e64 v43, s[12:13], 0, v43, s[12:13]
	v_cmp_eq_f64_e64 s[12:13], s[26:27], v[14:15]
	s_and_b64 s[10:11], s[16:17], s[10:11]
	s_or_b64 s[10:11], s[14:15], s[10:11]
	v_addc_co_u32_e64 v45, s[10:11], 0, v45, s[10:11]
	v_cmp_gt_i32_e64 s[10:11], s6, v36
	s_and_b64 s[12:13], s[16:17], s[12:13]
	s_and_b64 s[10:11], s[12:13], s[10:11]
	v_addc_co_u32_e64 v44, s[10:11], 0, v44, s[10:11]
	s_or_b64 exec, exec, s[18:19]
	s_and_saveexec_b64 s[16:17], s[8:9]
	s_cbranch_execz .LBB38_22
.LBB38_30:                              ;   in Loop: Header=BB38_3 Depth=1
	s_waitcnt vmcnt(1)
	v_cmp_u_f64_e64 s[10:11], v[16:17], v[16:17]
	v_cmp_gt_f64_e64 s[8:9], s[26:27], v[16:17]
	s_waitcnt vmcnt(0)
	v_cmp_lt_i32_e64 s[12:13], 0, v5
	v_addc_co_u32_e64 v1, s[12:13], 0, v1, s[12:13]
	s_waitcnt lgkmcnt(0)
	v_cmp_eq_u32_e64 s[14:15], s44, v5
	v_cmp_lt_i32_e64 s[12:13], s44, v5
	v_addc_co_u32_e64 v43, s[10:11], 0, v43, s[10:11]
	v_cmp_eq_f64_e64 s[10:11], s[26:27], v[16:17]
	s_and_b64 s[8:9], s[14:15], s[8:9]
	s_or_b64 s[8:9], s[12:13], s[8:9]
	v_addc_co_u32_e64 v45, s[8:9], 0, v45, s[8:9]
	v_cmp_gt_i32_e64 s[8:9], s6, v34
	s_and_b64 s[10:11], s[14:15], s[10:11]
	s_and_b64 s[8:9], s[10:11], s[8:9]
	v_addc_co_u32_e64 v44, s[8:9], 0, v44, s[8:9]
	s_or_b64 exec, exec, s[16:17]
	s_and_saveexec_b64 s[14:15], s[4:5]
	s_cbranch_execz .LBB38_23
.LBB38_31:                              ;   in Loop: Header=BB38_3 Depth=1
	s_waitcnt vmcnt(1)
	v_cmp_u_f64_e64 s[8:9], v[18:19], v[18:19]
	v_cmp_gt_f64_e64 s[4:5], s[26:27], v[18:19]
	s_waitcnt vmcnt(0)
	v_cmp_lt_i32_e64 s[10:11], 0, v6
	v_addc_co_u32_e64 v1, s[10:11], 0, v1, s[10:11]
	s_waitcnt lgkmcnt(0)
	v_cmp_eq_u32_e64 s[12:13], s44, v6
	v_cmp_lt_i32_e64 s[10:11], s44, v6
	v_addc_co_u32_e64 v43, s[8:9], 0, v43, s[8:9]
	v_cmp_eq_f64_e64 s[8:9], s[26:27], v[18:19]
	s_and_b64 s[4:5], s[12:13], s[4:5]
	s_or_b64 s[4:5], s[10:11], s[4:5]
	v_addc_co_u32_e64 v45, s[4:5], 0, v45, s[4:5]
	v_cmp_gt_i32_e64 s[4:5], s6, v32
	s_and_b64 s[8:9], s[12:13], s[8:9]
	s_and_b64 s[4:5], s[8:9], s[4:5]
	v_addc_co_u32_e64 v44, s[4:5], 0, v44, s[4:5]
	s_or_b64 exec, exec, s[14:15]
	s_and_saveexec_b64 s[12:13], s[2:3]
	s_cbranch_execz .LBB38_24
.LBB38_32:                              ;   in Loop: Header=BB38_3 Depth=1
	s_waitcnt vmcnt(1)
	v_cmp_u_f64_e64 s[4:5], v[20:21], v[20:21]
	v_cmp_gt_f64_e64 s[2:3], s[26:27], v[20:21]
	s_waitcnt vmcnt(0)
	v_cmp_lt_i32_e64 s[8:9], 0, v7
	v_addc_co_u32_e64 v1, s[8:9], 0, v1, s[8:9]
	s_waitcnt lgkmcnt(0)
	v_cmp_eq_u32_e64 s[10:11], s44, v7
	v_cmp_lt_i32_e64 s[8:9], s44, v7
	v_addc_co_u32_e64 v43, s[4:5], 0, v43, s[4:5]
	v_cmp_eq_f64_e64 s[4:5], s[26:27], v[20:21]
	s_and_b64 s[2:3], s[10:11], s[2:3]
	s_or_b64 s[2:3], s[8:9], s[2:3]
	v_addc_co_u32_e64 v45, s[2:3], 0, v45, s[2:3]
	v_cmp_gt_i32_e64 s[2:3], s6, v30
	s_and_b64 s[4:5], s[10:11], s[4:5]
	s_and_b64 s[2:3], s[4:5], s[2:3]
	v_addc_co_u32_e64 v44, s[2:3], 0, v44, s[2:3]
	s_or_b64 exec, exec, s[12:13]
	s_and_saveexec_b64 s[10:11], s[0:1]
	s_cbranch_execz .LBB38_25
.LBB38_33:                              ;   in Loop: Header=BB38_3 Depth=1
	s_waitcnt vmcnt(1)
	v_cmp_u_f64_e64 s[2:3], v[22:23], v[22:23]
	v_cmp_gt_f64_e64 s[0:1], s[26:27], v[22:23]
	s_waitcnt vmcnt(0)
	v_cmp_lt_i32_e64 s[4:5], 0, v8
	v_addc_co_u32_e64 v1, s[4:5], 0, v1, s[4:5]
	s_waitcnt lgkmcnt(0)
	v_cmp_eq_u32_e64 s[8:9], s44, v8
	v_cmp_lt_i32_e64 s[4:5], s44, v8
	v_addc_co_u32_e64 v43, s[2:3], 0, v43, s[2:3]
	v_cmp_eq_f64_e64 s[2:3], s[26:27], v[22:23]
	s_and_b64 s[0:1], s[8:9], s[0:1]
	s_or_b64 s[0:1], s[4:5], s[0:1]
	v_addc_co_u32_e64 v45, s[0:1], 0, v45, s[0:1]
	v_cmp_gt_i32_e64 s[0:1], s6, v28
	s_and_b64 s[2:3], s[8:9], s[2:3]
	s_and_b64 s[0:1], s[2:3], s[0:1]
	v_addc_co_u32_e64 v44, s[0:1], 0, v44, s[0:1]
	s_or_b64 exec, exec, s[10:11]
	s_and_saveexec_b64 s[8:9], vcc
	s_cbranch_execz .LBB38_2
.LBB38_34:                              ;   in Loop: Header=BB38_3 Depth=1
	s_waitcnt vmcnt(1)
	v_cmp_u_f64_e64 s[0:1], v[24:25], v[24:25]
	v_cmp_gt_f64_e32 vcc, s[26:27], v[24:25]
	s_waitcnt vmcnt(0)
	v_cmp_lt_i32_e64 s[2:3], 0, v9
	v_addc_co_u32_e64 v1, s[2:3], 0, v1, s[2:3]
	s_waitcnt lgkmcnt(0)
	v_cmp_eq_u32_e64 s[4:5], s44, v9
	v_cmp_lt_i32_e64 s[2:3], s44, v9
	v_addc_co_u32_e64 v43, s[0:1], 0, v43, s[0:1]
	v_cmp_eq_f64_e64 s[0:1], s[26:27], v[24:25]
	s_and_b64 s[10:11], s[4:5], vcc
	s_or_b64 vcc, s[2:3], s[10:11]
	v_addc_co_u32_e32 v45, vcc, 0, v45, vcc
	v_cmp_gt_i32_e32 vcc, s6, v26
	s_and_b64 s[0:1], s[4:5], s[0:1]
	s_and_b64 vcc, s[0:1], vcc
	v_addc_co_u32_e32 v44, vcc, 0, v44, vcc
	s_branch .LBB38_2
.LBB38_35:
	s_mov_b64 s[0:1], -1
	v_mov_b32_e32 v2, 0
	v_mov_b32_e32 v1, 0
	v_lshlrev_b32_e32 v3, 2, v0
	s_cmp_lt_u32 s37, 2
	ds_write2st64_b32 v3, v1, v2 offset1:8
	s_cbranch_scc0 .LBB38_37
	s_branch .LBB38_42
.LBB38_36:
	s_waitcnt vmcnt(0)
	v_add_u32_e32 v2, v44, v45
	v_cmp_eq_u32_e64 s[0:1], 0, v43
	v_lshlrev_b32_e32 v3, 2, v0
	s_cmp_lt_u32 s37, 2
	ds_write2st64_b32 v3, v1, v2 offset1:8
	s_cbranch_scc1 .LBB38_42
.LBB38_37:
	v_or_b32_e32 v4, 0x800, v3
.LBB38_38:                              ; =>This Inner Loop Header: Depth=1
	s_lshr_b32 s4, s37, 1
	v_cmp_gt_u32_e32 vcc, s4, v0
	s_waitcnt lgkmcnt(0)
	s_barrier
	s_and_saveexec_b64 s[2:3], vcc
	s_cbranch_execz .LBB38_40
; %bb.39:                               ;   in Loop: Header=BB38_38 Depth=1
	s_lshl_b32 s5, s4, 2
	v_add_u32_e32 v5, s5, v4
	v_add_u32_e32 v6, s5, v3
	ds_read_b32 v5, v5
	ds_read_b32 v6, v6
	s_waitcnt lgkmcnt(1)
	v_add_u32_e32 v2, v5, v2
	s_waitcnt lgkmcnt(0)
	v_add_u32_e32 v1, v6, v1
	ds_write_b32 v4, v2
	ds_write_b32 v3, v1
.LBB38_40:                              ;   in Loop: Header=BB38_38 Depth=1
	s_or_b64 exec, exec, s[2:3]
	s_cmp_lt_u32 s37, 4
	s_cbranch_scc1 .LBB38_42
; %bb.41:                               ;   in Loop: Header=BB38_38 Depth=1
	s_mov_b32 s37, s4
	s_branch .LBB38_38
.LBB38_42:
	s_mul_i32 s4, s36, 10
	s_mul_i32 s2, s28, 6
	s_ashr_i32 s5, s4, 31
	s_xor_b64 s[0:1], s[0:1], -1
	s_ashr_i32 s3, s2, 31
	s_lshl_b64 s[4:5], s[4:5], 3
	s_add_u32 s4, s24, s4
	s_addc_u32 s5, s25, s5
	s_lshl_b64 s[2:3], s[2:3], 3
	s_add_u32 s4, s4, s2
	s_addc_u32 s5, s5, s3
	v_cmp_eq_u32_e32 vcc, 0, v0
	s_and_saveexec_b64 s[2:3], vcc
	s_cbranch_execz .LBB38_44
; %bb.43:
	v_add_u32_e32 v2, s7, v2
	v_ashrrev_i32_e32 v3, 31, v2
	v_lshlrev_b64 v[4:5], 3, v[2:3]
	v_mov_b32_e32 v0, s5
	v_add_co_u32_e32 v4, vcc, s4, v4
	v_lshlrev_b64 v[2:3], 2, v[2:3]
	v_addc_co_u32_e32 v5, vcc, v0, v5, vcc
	v_mov_b32_e32 v0, s35
	v_add_co_u32_e32 v6, vcc, s34, v2
	v_addc_co_u32_e32 v7, vcc, v0, v3, vcc
	v_mov_b32_e32 v0, s33
	v_add_co_u32_e32 v2, vcc, s29, v2
	v_addc_co_u32_e32 v3, vcc, v0, v3, vcc
	v_mov_b32_e32 v0, s6
	global_store_dword v[2:3], v1, off
	global_store_dword v[6:7], v0, off
	v_mov_b32_e32 v0, s26
	v_mov_b32_e32 v1, s27
	global_store_dwordx2 v[4:5], v[0:1], off
.LBB38_44:
	s_or_b64 exec, exec, s[2:3]
	s_waitcnt vmcnt(0) lgkmcnt(0)
	s_barrier
	s_and_saveexec_b64 s[2:3], s[0:1]
	s_cbranch_execz .LBB38_46
; %bb.45:
	s_add_u32 s0, s4, s22
	s_addc_u32 s1, s5, s23
	v_mov_b32_e32 v0, 0
	v_mov_b32_e32 v1, 0x7ff80000
	global_store_dwordx2 v0, v[0:1], s[0:1]
.LBB38_46:
	s_endpgm
	.section	.rodata,"a",@progbits
	.p2align	6, 0x0
	.amdhsa_kernel _ZN9rocsolver6v33100L31stedc_mergePrepare_SortD_kernelIdEEviiPT_lS3_Pi
		.amdhsa_group_segment_fixed_size 4096
		.amdhsa_private_segment_fixed_size 0
		.amdhsa_kernarg_size 296
		.amdhsa_user_sgpr_count 6
		.amdhsa_user_sgpr_private_segment_buffer 1
		.amdhsa_user_sgpr_dispatch_ptr 0
		.amdhsa_user_sgpr_queue_ptr 0
		.amdhsa_user_sgpr_kernarg_segment_ptr 1
		.amdhsa_user_sgpr_dispatch_id 0
		.amdhsa_user_sgpr_flat_scratch_init 0
		.amdhsa_user_sgpr_private_segment_size 0
		.amdhsa_uses_dynamic_stack 0
		.amdhsa_system_sgpr_private_segment_wavefront_offset 0
		.amdhsa_system_sgpr_workgroup_id_x 1
		.amdhsa_system_sgpr_workgroup_id_y 1
		.amdhsa_system_sgpr_workgroup_id_z 0
		.amdhsa_system_sgpr_workgroup_info 0
		.amdhsa_system_vgpr_workitem_id 0
		.amdhsa_next_free_vgpr 50
		.amdhsa_next_free_sgpr 53
		.amdhsa_reserve_vcc 1
		.amdhsa_reserve_flat_scratch 0
		.amdhsa_float_round_mode_32 0
		.amdhsa_float_round_mode_16_64 0
		.amdhsa_float_denorm_mode_32 3
		.amdhsa_float_denorm_mode_16_64 3
		.amdhsa_dx10_clamp 1
		.amdhsa_ieee_mode 1
		.amdhsa_fp16_overflow 0
		.amdhsa_exception_fp_ieee_invalid_op 0
		.amdhsa_exception_fp_denorm_src 0
		.amdhsa_exception_fp_ieee_div_zero 0
		.amdhsa_exception_fp_ieee_overflow 0
		.amdhsa_exception_fp_ieee_underflow 0
		.amdhsa_exception_fp_ieee_inexact 0
		.amdhsa_exception_int_div_zero 0
	.end_amdhsa_kernel
	.section	.text._ZN9rocsolver6v33100L31stedc_mergePrepare_SortD_kernelIdEEviiPT_lS3_Pi,"axG",@progbits,_ZN9rocsolver6v33100L31stedc_mergePrepare_SortD_kernelIdEEviiPT_lS3_Pi,comdat
.Lfunc_end38:
	.size	_ZN9rocsolver6v33100L31stedc_mergePrepare_SortD_kernelIdEEviiPT_lS3_Pi, .Lfunc_end38-_ZN9rocsolver6v33100L31stedc_mergePrepare_SortD_kernelIdEEviiPT_lS3_Pi
                                        ; -- End function
	.set _ZN9rocsolver6v33100L31stedc_mergePrepare_SortD_kernelIdEEviiPT_lS3_Pi.num_vgpr, 50
	.set _ZN9rocsolver6v33100L31stedc_mergePrepare_SortD_kernelIdEEviiPT_lS3_Pi.num_agpr, 0
	.set _ZN9rocsolver6v33100L31stedc_mergePrepare_SortD_kernelIdEEviiPT_lS3_Pi.numbered_sgpr, 53
	.set _ZN9rocsolver6v33100L31stedc_mergePrepare_SortD_kernelIdEEviiPT_lS3_Pi.num_named_barrier, 0
	.set _ZN9rocsolver6v33100L31stedc_mergePrepare_SortD_kernelIdEEviiPT_lS3_Pi.private_seg_size, 0
	.set _ZN9rocsolver6v33100L31stedc_mergePrepare_SortD_kernelIdEEviiPT_lS3_Pi.uses_vcc, 1
	.set _ZN9rocsolver6v33100L31stedc_mergePrepare_SortD_kernelIdEEviiPT_lS3_Pi.uses_flat_scratch, 0
	.set _ZN9rocsolver6v33100L31stedc_mergePrepare_SortD_kernelIdEEviiPT_lS3_Pi.has_dyn_sized_stack, 0
	.set _ZN9rocsolver6v33100L31stedc_mergePrepare_SortD_kernelIdEEviiPT_lS3_Pi.has_recursion, 0
	.set _ZN9rocsolver6v33100L31stedc_mergePrepare_SortD_kernelIdEEviiPT_lS3_Pi.has_indirect_call, 0
	.section	.AMDGPU.csdata,"",@progbits
; Kernel info:
; codeLenInByte = 2888
; TotalNumSgprs: 57
; NumVgprs: 50
; ScratchSize: 0
; MemoryBound: 0
; FloatMode: 240
; IeeeMode: 1
; LDSByteSize: 4096 bytes/workgroup (compile time only)
; SGPRBlocks: 7
; VGPRBlocks: 12
; NumSGPRsForWavesPerEU: 57
; NumVGPRsForWavesPerEU: 50
; Occupancy: 4
; WaveLimiterHint : 1
; COMPUTE_PGM_RSRC2:SCRATCH_EN: 0
; COMPUTE_PGM_RSRC2:USER_SGPR: 6
; COMPUTE_PGM_RSRC2:TRAP_HANDLER: 0
; COMPUTE_PGM_RSRC2:TGID_X_EN: 1
; COMPUTE_PGM_RSRC2:TGID_Y_EN: 1
; COMPUTE_PGM_RSRC2:TGID_Z_EN: 0
; COMPUTE_PGM_RSRC2:TIDIG_COMP_CNT: 0
	.section	.text._ZN9rocsolver6v33100L38stedc_mergePrepare_SetCandFlags_kernelIdEEviiPT_lS3_Pi,"axG",@progbits,_ZN9rocsolver6v33100L38stedc_mergePrepare_SetCandFlags_kernelIdEEviiPT_lS3_Pi,comdat
	.globl	_ZN9rocsolver6v33100L38stedc_mergePrepare_SetCandFlags_kernelIdEEviiPT_lS3_Pi ; -- Begin function _ZN9rocsolver6v33100L38stedc_mergePrepare_SetCandFlags_kernelIdEEviiPT_lS3_Pi
	.p2align	8
	.type	_ZN9rocsolver6v33100L38stedc_mergePrepare_SetCandFlags_kernelIdEEviiPT_lS3_Pi,@function
_ZN9rocsolver6v33100L38stedc_mergePrepare_SetCandFlags_kernelIdEEviiPT_lS3_Pi: ; @_ZN9rocsolver6v33100L38stedc_mergePrepare_SetCandFlags_kernelIdEEviiPT_lS3_Pi
; %bb.0:
	s_load_dword s1, s[4:5], 0x34
	s_load_dword s0, s[4:5], 0x4
	s_waitcnt lgkmcnt(0)
	s_and_b32 s1, s1, 0xffff
	s_mul_i32 s6, s6, s1
	v_add_u32_e32 v0, s6, v0
	v_cmp_gt_i32_e32 vcc, s0, v0
	s_and_saveexec_b64 s[2:3], vcc
	s_cbranch_execz .LBB39_6
; %bb.1:
	s_load_dwordx4 s[8:11], s[4:5], 0x18
	s_mul_i32 s12, s0, s7
	s_mul_i32 s2, s12, 13
	s_ashr_i32 s3, s2, 31
	s_lshl_b64 s[2:3], s[2:3], 2
	s_waitcnt lgkmcnt(0)
	s_add_u32 s1, s10, s2
	s_mul_i32 s2, s0, 6
	s_addc_u32 s5, s11, s3
	s_ashr_i32 s3, s2, 31
	s_lshl_b64 s[2:3], s[2:3], 2
	s_add_u32 s4, s1, s2
	s_addc_u32 s5, s5, s3
	s_ashr_i32 s1, s0, 31
	s_mul_i32 s3, s0, 20
	s_mul_hi_i32 s2, s0, 20
	s_add_u32 s6, s4, s3
	s_addc_u32 s7, s5, s2
	s_mul_i32 s2, s12, 10
	s_ashr_i32 s3, s2, 31
	s_lshl_b64 s[2:3], s[2:3], 3
	s_add_u32 s8, s8, s2
	s_addc_u32 s9, s9, s3
	s_lshl_b32 s2, s0, 2
	s_ashr_i32 s3, s2, 31
	v_max_i32_e32 v1, 1, v0
	s_lshl_b64 s[2:3], s[2:3], 3
	v_add_u32_e32 v2, -1, v1
	v_ashrrev_i32_e32 v1, 31, v0
	s_add_u32 s10, s8, s2
	v_lshlrev_b64 v[3:4], 3, v[0:1]
	s_addc_u32 s9, s9, s3
	s_lshl_b64 s[2:3], s[0:1], 4
	s_add_u32 s1, s10, s2
	v_mov_b32_e32 v5, s9
	v_add_co_u32_e32 v12, vcc, s10, v3
	s_addc_u32 s8, s9, s3
	v_addc_co_u32_e32 v13, vcc, v5, v4, vcc
	v_mov_b32_e32 v5, s8
	v_add_co_u32_e32 v14, vcc, s1, v3
	v_mov_b32_e32 v3, 0
	v_addc_co_u32_e32 v15, vcc, v5, v4, vcc
	v_lshlrev_b64 v[4:5], 3, v[2:3]
	s_sub_u32 s2, 0, s2
	v_mov_b32_e32 v6, s8
	v_add_co_u32_e32 v4, vcc, s1, v4
	s_subb_u32 s3, 0, s3
	v_addc_co_u32_e32 v5, vcc, v6, v5, vcc
	s_add_u32 s2, s6, s2
	global_load_dwordx2 v[6:7], v[12:13], off
	global_load_dwordx2 v[8:9], v[14:15], off
	;; [unrolled: 1-line block ×3, first 2 shown]
	v_lshlrev_b64 v[4:5], 2, v[0:1]
	s_addc_u32 s3, s7, s3
	v_mov_b32_e32 v1, s3
	v_add_co_u32_e32 v13, vcc, s2, v4
	v_addc_co_u32_e32 v14, vcc, v1, v5, vcc
	v_mov_b32_e32 v1, s5
	v_add_co_u32_e32 v15, vcc, s4, v4
	v_addc_co_u32_e32 v16, vcc, v1, v5, vcc
	global_load_dword v1, v[13:14], off
	global_load_dword v12, v[15:16], off
	v_lshlrev_b64 v[13:14], 2, v[2:3]
	v_mov_b32_e32 v2, s5
	v_add_co_u32_e32 v13, vcc, s4, v13
	v_addc_co_u32_e32 v14, vcc, v2, v14, vcc
	global_load_dword v2, v[13:14], off
	s_waitcnt vmcnt(2)
	v_add_u32_e32 v14, -1, v1
	s_waitcnt vmcnt(1)
	v_sub_u32_e32 v13, v0, v12
	v_cmp_lt_i32_e32 vcc, v13, v14
	s_and_saveexec_b64 s[2:3], vcc
	s_cbranch_execz .LBB39_5
; %bb.2:
	v_add_u32_e32 v3, 1, v0
	v_cmp_gt_i32_e32 vcc, s0, v3
	v_cndmask_b32_e32 v14, v0, v3, vcc
	v_ashrrev_i32_e32 v15, 31, v14
	v_lshlrev_b64 v[16:17], 3, v[14:15]
	v_mov_b32_e32 v3, s8
	v_add_co_u32_e32 v16, vcc, s1, v16
	v_addc_co_u32_e32 v17, vcc, v3, v17, vcc
	global_load_dwordx2 v[16:17], v[16:17], off
	v_lshlrev_b64 v[14:15], 2, v[14:15]
	v_mov_b32_e32 v3, s5
	v_add_co_u32_e32 v14, vcc, s4, v14
	v_addc_co_u32_e32 v15, vcc, v3, v15, vcc
	global_load_dword v3, v[14:15], off
	s_waitcnt vmcnt(1)
	v_add_f64 v[14:15], v[8:9], -v[16:17]
	s_waitcnt vmcnt(0)
	v_cmp_eq_u32_e32 vcc, v12, v3
	v_cmp_le_f64_e64 s[4:5], |v[14:15]|, v[6:7]
	v_mov_b32_e32 v3, 0
	s_and_b64 s[8:9], vcc, s[4:5]
	s_and_saveexec_b64 s[4:5], s[8:9]
; %bb.3:
	s_add_i32 s0, s0, -1
	v_cmp_ne_u32_e32 vcc, s0, v0
	v_cndmask_b32_e64 v3, 0, 1, vcc
; %bb.4:
	s_or_b64 exec, exec, s[4:5]
.LBB39_5:
	s_or_b64 exec, exec, s[2:3]
	v_add_f64 v[8:9], v[8:9], -v[10:11]
	v_cmp_ge_i32_e32 vcc, v13, v1
	s_waitcnt vmcnt(0)
	v_cmp_ne_u32_e64 s[0:1], v12, v2
	v_cmp_lt_i32_e64 s[2:3], 0, v0
	s_or_b64 s[0:1], vcc, s[0:1]
	v_cndmask_b32_e64 v0, 0, 2, s[2:3]
	v_mov_b32_e32 v1, s7
	v_cmp_nle_f64_e64 s[4:5], |v[8:9]|, v[6:7]
	s_or_b64 s[0:1], s[0:1], s[4:5]
	v_cndmask_b32_e64 v0, v0, 0, s[0:1]
	v_or_b32_e32 v2, v3, v0
	v_add_co_u32_e32 v0, vcc, s6, v4
	v_addc_co_u32_e32 v1, vcc, v1, v5, vcc
	global_store_dword v[0:1], v2, off
.LBB39_6:
	s_endpgm
	.section	.rodata,"a",@progbits
	.p2align	6, 0x0
	.amdhsa_kernel _ZN9rocsolver6v33100L38stedc_mergePrepare_SetCandFlags_kernelIdEEviiPT_lS3_Pi
		.amdhsa_group_segment_fixed_size 0
		.amdhsa_private_segment_fixed_size 0
		.amdhsa_kernarg_size 296
		.amdhsa_user_sgpr_count 6
		.amdhsa_user_sgpr_private_segment_buffer 1
		.amdhsa_user_sgpr_dispatch_ptr 0
		.amdhsa_user_sgpr_queue_ptr 0
		.amdhsa_user_sgpr_kernarg_segment_ptr 1
		.amdhsa_user_sgpr_dispatch_id 0
		.amdhsa_user_sgpr_flat_scratch_init 0
		.amdhsa_user_sgpr_private_segment_size 0
		.amdhsa_uses_dynamic_stack 0
		.amdhsa_system_sgpr_private_segment_wavefront_offset 0
		.amdhsa_system_sgpr_workgroup_id_x 1
		.amdhsa_system_sgpr_workgroup_id_y 1
		.amdhsa_system_sgpr_workgroup_id_z 0
		.amdhsa_system_sgpr_workgroup_info 0
		.amdhsa_system_vgpr_workitem_id 0
		.amdhsa_next_free_vgpr 18
		.amdhsa_next_free_sgpr 13
		.amdhsa_reserve_vcc 1
		.amdhsa_reserve_flat_scratch 0
		.amdhsa_float_round_mode_32 0
		.amdhsa_float_round_mode_16_64 0
		.amdhsa_float_denorm_mode_32 3
		.amdhsa_float_denorm_mode_16_64 3
		.amdhsa_dx10_clamp 1
		.amdhsa_ieee_mode 1
		.amdhsa_fp16_overflow 0
		.amdhsa_exception_fp_ieee_invalid_op 0
		.amdhsa_exception_fp_denorm_src 0
		.amdhsa_exception_fp_ieee_div_zero 0
		.amdhsa_exception_fp_ieee_overflow 0
		.amdhsa_exception_fp_ieee_underflow 0
		.amdhsa_exception_fp_ieee_inexact 0
		.amdhsa_exception_int_div_zero 0
	.end_amdhsa_kernel
	.section	.text._ZN9rocsolver6v33100L38stedc_mergePrepare_SetCandFlags_kernelIdEEviiPT_lS3_Pi,"axG",@progbits,_ZN9rocsolver6v33100L38stedc_mergePrepare_SetCandFlags_kernelIdEEviiPT_lS3_Pi,comdat
.Lfunc_end39:
	.size	_ZN9rocsolver6v33100L38stedc_mergePrepare_SetCandFlags_kernelIdEEviiPT_lS3_Pi, .Lfunc_end39-_ZN9rocsolver6v33100L38stedc_mergePrepare_SetCandFlags_kernelIdEEviiPT_lS3_Pi
                                        ; -- End function
	.set _ZN9rocsolver6v33100L38stedc_mergePrepare_SetCandFlags_kernelIdEEviiPT_lS3_Pi.num_vgpr, 18
	.set _ZN9rocsolver6v33100L38stedc_mergePrepare_SetCandFlags_kernelIdEEviiPT_lS3_Pi.num_agpr, 0
	.set _ZN9rocsolver6v33100L38stedc_mergePrepare_SetCandFlags_kernelIdEEviiPT_lS3_Pi.numbered_sgpr, 13
	.set _ZN9rocsolver6v33100L38stedc_mergePrepare_SetCandFlags_kernelIdEEviiPT_lS3_Pi.num_named_barrier, 0
	.set _ZN9rocsolver6v33100L38stedc_mergePrepare_SetCandFlags_kernelIdEEviiPT_lS3_Pi.private_seg_size, 0
	.set _ZN9rocsolver6v33100L38stedc_mergePrepare_SetCandFlags_kernelIdEEviiPT_lS3_Pi.uses_vcc, 1
	.set _ZN9rocsolver6v33100L38stedc_mergePrepare_SetCandFlags_kernelIdEEviiPT_lS3_Pi.uses_flat_scratch, 0
	.set _ZN9rocsolver6v33100L38stedc_mergePrepare_SetCandFlags_kernelIdEEviiPT_lS3_Pi.has_dyn_sized_stack, 0
	.set _ZN9rocsolver6v33100L38stedc_mergePrepare_SetCandFlags_kernelIdEEviiPT_lS3_Pi.has_recursion, 0
	.set _ZN9rocsolver6v33100L38stedc_mergePrepare_SetCandFlags_kernelIdEEviiPT_lS3_Pi.has_indirect_call, 0
	.section	.AMDGPU.csdata,"",@progbits
; Kernel info:
; codeLenInByte = 616
; TotalNumSgprs: 17
; NumVgprs: 18
; ScratchSize: 0
; MemoryBound: 0
; FloatMode: 240
; IeeeMode: 1
; LDSByteSize: 0 bytes/workgroup (compile time only)
; SGPRBlocks: 2
; VGPRBlocks: 4
; NumSGPRsForWavesPerEU: 17
; NumVGPRsForWavesPerEU: 18
; Occupancy: 10
; WaveLimiterHint : 0
; COMPUTE_PGM_RSRC2:SCRATCH_EN: 0
; COMPUTE_PGM_RSRC2:USER_SGPR: 6
; COMPUTE_PGM_RSRC2:TRAP_HANDLER: 0
; COMPUTE_PGM_RSRC2:TGID_X_EN: 1
; COMPUTE_PGM_RSRC2:TGID_Y_EN: 1
; COMPUTE_PGM_RSRC2:TGID_Z_EN: 0
; COMPUTE_PGM_RSRC2:TIDIG_COMP_CNT: 0
	.section	.text._ZN9rocsolver6v33100L38stedc_mergePrepare_DeflateCount_kernelIdEEviiPT_lS3_Pi,"axG",@progbits,_ZN9rocsolver6v33100L38stedc_mergePrepare_DeflateCount_kernelIdEEviiPT_lS3_Pi,comdat
	.globl	_ZN9rocsolver6v33100L38stedc_mergePrepare_DeflateCount_kernelIdEEviiPT_lS3_Pi ; -- Begin function _ZN9rocsolver6v33100L38stedc_mergePrepare_DeflateCount_kernelIdEEviiPT_lS3_Pi
	.p2align	8
	.type	_ZN9rocsolver6v33100L38stedc_mergePrepare_DeflateCount_kernelIdEEviiPT_lS3_Pi,@function
_ZN9rocsolver6v33100L38stedc_mergePrepare_DeflateCount_kernelIdEEviiPT_lS3_Pi: ; @_ZN9rocsolver6v33100L38stedc_mergePrepare_DeflateCount_kernelIdEEviiPT_lS3_Pi
; %bb.0:
	s_load_dword s12, s[4:5], 0x4
	s_load_dwordx4 s[8:11], s[4:5], 0x18
	s_load_dword s2, s[4:5], 0x34
	s_waitcnt lgkmcnt(0)
	s_mul_i32 s20, s12, s7
	s_mul_i32 s0, s20, 13
	s_ashr_i32 s1, s0, 31
	s_lshl_b64 s[14:15], s[0:1], 2
	s_add_u32 s3, s10, s14
	s_mul_i32 s0, s12, 9
	s_addc_u32 s4, s11, s15
	s_ashr_i32 s1, s0, 31
	s_lshl_b64 s[16:17], s[0:1], 2
	s_add_u32 s24, s3, s16
	s_addc_u32 s25, s4, s17
	s_ashr_i32 s13, s12, 31
	s_lshl_b64 s[18:19], s[12:13], 3
	s_add_u32 s21, s24, s18
	s_addc_u32 s22, s25, s19
	s_and_b32 s27, s2, 0xffff
	s_mul_i32 s26, s6, s27
	v_add_u32_e32 v1, s26, v0
	v_max_i32_e32 v2, 1, v1
	v_cmp_ge_i32_e32 vcc, s12, v2
	s_mov_b64 s[4:5], -1
	s_and_saveexec_b64 s[0:1], vcc
	s_cbranch_execz .LBB40_2
; %bb.1:
	v_mov_b32_e32 v3, 0
	v_lshlrev_b64 v[2:3], 2, v[2:3]
	v_mov_b32_e32 v4, s22
	v_add_co_u32_e32 v2, vcc, s21, v2
	v_addc_co_u32_e32 v3, vcc, v4, v3, vcc
	global_load_dword v2, v[2:3], off offset:-4
	s_waitcnt vmcnt(0)
	v_and_b32_e32 v2, 1, v2
	v_cmp_eq_u32_e32 vcc, 0, v2
	s_orn2_b64 s[4:5], vcc, exec
.LBB40_2:
	s_or_b64 exec, exec, s[0:1]
	v_cmp_le_i32_e32 vcc, s12, v1
	v_cmp_gt_i32_e64 s[0:1], s12, v1
	s_mov_b64 s[2:3], 0
	v_ashrrev_i32_e32 v2, 31, v1
	s_and_saveexec_b64 s[6:7], s[0:1]
	s_cbranch_execz .LBB40_4
; %bb.3:
	v_lshlrev_b64 v[3:4], 2, v[1:2]
	v_mov_b32_e32 v5, s22
	v_add_co_u32_e64 v3, s[2:3], s21, v3
	v_addc_co_u32_e64 v4, s[2:3], v5, v4, s[2:3]
	global_load_dword v3, v[3:4], off
	s_waitcnt vmcnt(0)
	v_and_b32_e32 v3, 1, v3
	v_cmp_eq_u32_e64 s[2:3], 1, v3
	s_and_b64 s[2:3], s[2:3], exec
.LBB40_4:
	s_or_b64 exec, exec, s[6:7]
	s_mul_i32 s6, s20, 10
	s_ashr_i32 s7, s6, 31
	s_lshl_b64 s[6:7], s[6:7], 3
	s_add_u32 s22, s8, s6
	s_mul_i32 s20, s12, 6
	s_addc_u32 s23, s9, s7
	s_ashr_i32 s21, s20, 31
	s_lshl_b64 s[20:21], s[20:21], 3
	s_add_u32 s28, s22, s20
	v_mov_b32_e32 v3, 0
	v_mov_b32_e32 v4, 0
	s_addc_u32 s29, s23, s21
	s_and_saveexec_b64 s[22:23], s[0:1]
	s_cbranch_execz .LBB40_6
; %bb.5:
	v_lshlrev_b64 v[3:4], 3, v[1:2]
	v_mov_b32_e32 v5, s29
	v_add_co_u32_e64 v3, s[0:1], s28, v3
	v_addc_co_u32_e64 v4, s[0:1], v5, v4, s[0:1]
	global_load_dwordx2 v[3:4], v[3:4], off
.LBB40_6:
	s_or_b64 exec, exec, s[22:23]
	s_and_saveexec_b64 s[0:1], vcc
	s_xor_b64 s[0:1], exec, s[0:1]
	s_or_saveexec_b64 s[0:1], s[0:1]
	v_mov_b32_e32 v5, 0
	v_mov_b32_e32 v6, 0
	s_xor_b64 exec, exec, s[0:1]
	s_cbranch_execz .LBB40_8
; %bb.7:
	s_lshl_b64 s[22:23], s[12:13], 4
	s_sub_u32 s13, 0, s22
	s_subb_u32 s22, 0, s23
	s_add_u32 s13, s28, s13
	v_lshlrev_b64 v[5:6], 3, v[1:2]
	s_addc_u32 s22, s29, s22
	v_mov_b32_e32 v7, s22
	v_add_co_u32_e32 v5, vcc, s13, v5
	v_addc_co_u32_e32 v6, vcc, v7, v6, vcc
	global_load_dwordx2 v[5:6], v[5:6], off
.LBB40_8:
	s_or_b64 exec, exec, s[0:1]
	s_lshl_b32 s22, s27, 3
	s_add_u32 s0, s18, s14
	s_addc_u32 s1, s19, s15
	s_add_u32 s13, s0, s16
	s_addc_u32 s14, s1, s17
	s_add_u32 s0, s10, s13
	v_lshlrev_b64 v[7:8], 2, v[1:2]
	s_addc_u32 s1, s11, s14
	s_lshl_b32 s17, s27, 2
	s_add_u32 s15, s6, s20
	v_mov_b32_e32 v9, s1
	v_add_co_u32_e32 v7, vcc, s0, v7
	s_addc_u32 s16, s7, s21
	v_addc_co_u32_e32 v8, vcc, v9, v8, vcc
	v_lshlrev_b64 v[9:10], 3, v[1:2]
	s_add_u32 s0, s8, s15
	s_addc_u32 s1, s9, s16
	v_lshlrev_b32_e32 v13, 3, v0
	v_mov_b32_e32 v11, s1
	v_add_co_u32_e32 v9, vcc, s0, v9
	v_lshlrev_b32_e32 v14, 2, v0
	v_addc_co_u32_e32 v10, vcc, v11, v10, vcc
	v_or_b32_e32 v15, 0x8000, v14
	s_mov_b64 s[0:1], 0
	s_movk_i32 s18, 0xfff
	v_mov_b32_e32 v16, v13
	v_mov_b32_e32 v17, v0
	s_branch .LBB40_10
.LBB40_9:                               ;   in Loop: Header=BB40_10 Depth=1
	s_or_b64 exec, exec, s[6:7]
	v_add_co_u32_e32 v7, vcc, s17, v7
	v_addc_co_u32_e32 v8, vcc, 0, v8, vcc
	v_add_co_u32_e32 v9, vcc, s22, v9
	v_add_u32_e32 v17, s27, v17
	v_addc_co_u32_e32 v10, vcc, 0, v10, vcc
	v_cmp_lt_u32_e32 vcc, s18, v17
	s_waitcnt vmcnt(1)
	ds_write_b64 v16, v[11:12]
	s_waitcnt vmcnt(0)
	ds_write_b32 v15, v18
	v_add_u32_e32 v16, s22, v16
	s_or_b64 s[0:1], vcc, s[0:1]
	v_add_u32_e32 v15, s17, v15
	s_andn2_b64 exec, exec, s[0:1]
	s_cbranch_execz .LBB40_12
.LBB40_10:                              ; =>This Inner Loop Header: Depth=1
	v_add_u32_e32 v11, s26, v17
	v_cmp_gt_i32_e32 vcc, s12, v11
	v_mov_b32_e32 v11, 0
	v_mov_b32_e32 v12, 0
	;; [unrolled: 1-line block ×3, first 2 shown]
	s_and_saveexec_b64 s[6:7], vcc
	s_cbranch_execz .LBB40_9
; %bb.11:                               ;   in Loop: Header=BB40_10 Depth=1
	global_load_dwordx2 v[11:12], v[9:10], off
	global_load_dword v18, v[7:8], off
	s_branch .LBB40_9
.LBB40_12:
	s_or_b64 exec, exec, s[0:1]
	v_cmp_eq_u32_e32 vcc, 0, v1
	s_or_b64 s[0:1], vcc, s[4:5]
	s_and_b64 s[0:1], s[2:3], s[0:1]
	s_waitcnt lgkmcnt(0)
	s_barrier
	s_and_saveexec_b64 s[2:3], s[0:1]
	s_cbranch_execz .LBB40_20
; %bb.13:
	ds_read_b32 v8, v14 offset:32776
	v_add_u32_e32 v7, 2, v1
	v_cmp_gt_i32_e32 vcc, s12, v7
	s_waitcnt lgkmcnt(0)
	v_and_b32_e32 v8, 2, v8
	v_cmp_ne_u32_e64 s[0:1], 0, v8
	s_and_b64 s[0:1], vcc, s[0:1]
	s_and_saveexec_b64 s[2:3], s[0:1]
	s_cbranch_execz .LBB40_19
; %bb.14:
	s_mov_b64 s[0:1], src_shared_base
	v_ashrrev_i32_e32 v8, 31, v7
	v_lshlrev_b64 v[9:10], 2, v[7:8]
	s_add_u32 s0, s10, s13
	s_addc_u32 s4, s11, s14
	v_mov_b32_e32 v2, s4
	v_add_co_u32_e32 v9, vcc, s0, v9
	v_addc_co_u32_e32 v2, vcc, v2, v10, vcc
	v_add_co_u32_e32 v9, vcc, 4, v9
	v_lshlrev_b64 v[7:8], 3, v[7:8]
	s_add_u32 s0, s8, s15
	v_addc_co_u32_e32 v10, vcc, 0, v2, vcc
	s_addc_u32 s4, s9, s16
	v_mov_b32_e32 v2, s4
	v_add_co_u32_e32 v11, vcc, s0, v7
	v_addc_co_u32_e32 v12, vcc, v2, v8, vcc
	v_add_u32_e32 v14, 0x800c, v14
	v_add_u32_e32 v13, 16, v13
	s_mov_b64 s[4:5], 0
	s_movk_i32 s6, 0x1000
	v_mov_b32_e32 v15, s1
	s_branch .LBB40_16
.LBB40_15:                              ;   in Loop: Header=BB40_16 Depth=1
	s_or_b64 exec, exec, s[0:1]
	v_add_u32_e32 v2, 3, v0
	v_cmp_gt_i32_e32 vcc, s6, v2
	v_cndmask_b32_e32 v8, v10, v15, vcc
	v_cndmask_b32_e32 v7, v9, v14, vcc
	flat_load_dword v2, v[7:8]
	v_add_co_u32_e32 v11, vcc, 8, v11
	v_add_co_u32_e64 v9, s[0:1], 4, v9
	v_add_u32_e32 v7, 3, v16
	v_addc_co_u32_e32 v12, vcc, 0, v12, vcc
	v_addc_co_u32_e64 v10, s[0:1], 0, v10, s[0:1]
	v_cmp_le_i32_e32 vcc, s12, v7
	v_add_u32_e32 v0, 1, v0
	v_add_u32_e32 v14, 4, v14
	;; [unrolled: 1-line block ×3, first 2 shown]
	s_waitcnt vmcnt(0) lgkmcnt(0)
	v_and_b32_e32 v2, 2, v2
	v_cmp_eq_u32_e64 s[0:1], 0, v2
	s_or_b64 s[0:1], vcc, s[0:1]
	s_and_b64 s[0:1], exec, s[0:1]
	s_or_b64 s[4:5], s[0:1], s[4:5]
	s_andn2_b64 exec, exec, s[4:5]
	s_cbranch_execz .LBB40_18
.LBB40_16:                              ; =>This Inner Loop Header: Depth=1
	v_add_u32_e32 v2, 2, v0
	v_cmp_gt_i32_e32 vcc, s6, v2
	v_cndmask_b32_e32 v8, v12, v15, vcc
	v_cndmask_b32_e32 v7, v11, v13, vcc
	flat_load_dwordx2 v[7:8], v[7:8]
	s_waitcnt vmcnt(0) lgkmcnt(0)
	v_add_f64 v[16:17], v[7:8], -v[3:4]
	v_cmp_gt_f64_e32 vcc, v[16:17], v[5:6]
	v_add_u32_e32 v16, s26, v0
	s_and_saveexec_b64 s[0:1], vcc
	s_cbranch_execz .LBB40_15
; %bb.17:                               ;   in Loop: Header=BB40_16 Depth=1
	v_ashrrev_i32_e32 v2, 31, v1
	v_lshlrev_b64 v[2:3], 2, v[1:2]
	v_mov_b32_e32 v4, s25
	v_add_co_u32_e32 v2, vcc, s24, v2
	v_sub_u32_e32 v1, v16, v1
	v_addc_co_u32_e32 v3, vcc, v4, v3, vcc
	v_add_u32_e32 v1, 1, v1
	v_add_u32_e32 v17, 2, v16
	global_store_dword v[2:3], v1, off
	v_mov_b32_e32 v3, v7
	v_mov_b32_e32 v4, v8
	;; [unrolled: 1-line block ×3, first 2 shown]
	s_branch .LBB40_15
.LBB40_18:
	s_or_b64 exec, exec, s[4:5]
	v_add3_u32 v7, s26, v0, 2
	v_ashrrev_i32_e32 v2, 31, v1
.LBB40_19:
	s_or_b64 exec, exec, s[2:3]
	v_xad_u32 v3, v1, -1, v7
	v_lshlrev_b64 v[0:1], 2, v[1:2]
	v_mov_b32_e32 v2, s25
	v_add_co_u32_e32 v0, vcc, s24, v0
	v_addc_co_u32_e32 v1, vcc, v2, v1, vcc
	global_store_dword v[0:1], v3, off
.LBB40_20:
	s_endpgm
	.section	.rodata,"a",@progbits
	.p2align	6, 0x0
	.amdhsa_kernel _ZN9rocsolver6v33100L38stedc_mergePrepare_DeflateCount_kernelIdEEviiPT_lS3_Pi
		.amdhsa_group_segment_fixed_size 49152
		.amdhsa_private_segment_fixed_size 0
		.amdhsa_kernarg_size 296
		.amdhsa_user_sgpr_count 6
		.amdhsa_user_sgpr_private_segment_buffer 1
		.amdhsa_user_sgpr_dispatch_ptr 0
		.amdhsa_user_sgpr_queue_ptr 0
		.amdhsa_user_sgpr_kernarg_segment_ptr 1
		.amdhsa_user_sgpr_dispatch_id 0
		.amdhsa_user_sgpr_flat_scratch_init 0
		.amdhsa_user_sgpr_private_segment_size 0
		.amdhsa_uses_dynamic_stack 0
		.amdhsa_system_sgpr_private_segment_wavefront_offset 0
		.amdhsa_system_sgpr_workgroup_id_x 1
		.amdhsa_system_sgpr_workgroup_id_y 1
		.amdhsa_system_sgpr_workgroup_id_z 0
		.amdhsa_system_sgpr_workgroup_info 0
		.amdhsa_system_vgpr_workitem_id 0
		.amdhsa_next_free_vgpr 85
		.amdhsa_next_free_sgpr 98
		.amdhsa_reserve_vcc 1
		.amdhsa_reserve_flat_scratch 0
		.amdhsa_float_round_mode_32 0
		.amdhsa_float_round_mode_16_64 0
		.amdhsa_float_denorm_mode_32 3
		.amdhsa_float_denorm_mode_16_64 3
		.amdhsa_dx10_clamp 1
		.amdhsa_ieee_mode 1
		.amdhsa_fp16_overflow 0
		.amdhsa_exception_fp_ieee_invalid_op 0
		.amdhsa_exception_fp_denorm_src 0
		.amdhsa_exception_fp_ieee_div_zero 0
		.amdhsa_exception_fp_ieee_overflow 0
		.amdhsa_exception_fp_ieee_underflow 0
		.amdhsa_exception_fp_ieee_inexact 0
		.amdhsa_exception_int_div_zero 0
	.end_amdhsa_kernel
	.section	.text._ZN9rocsolver6v33100L38stedc_mergePrepare_DeflateCount_kernelIdEEviiPT_lS3_Pi,"axG",@progbits,_ZN9rocsolver6v33100L38stedc_mergePrepare_DeflateCount_kernelIdEEviiPT_lS3_Pi,comdat
.Lfunc_end40:
	.size	_ZN9rocsolver6v33100L38stedc_mergePrepare_DeflateCount_kernelIdEEviiPT_lS3_Pi, .Lfunc_end40-_ZN9rocsolver6v33100L38stedc_mergePrepare_DeflateCount_kernelIdEEviiPT_lS3_Pi
                                        ; -- End function
	.set _ZN9rocsolver6v33100L38stedc_mergePrepare_DeflateCount_kernelIdEEviiPT_lS3_Pi.num_vgpr, 19
	.set _ZN9rocsolver6v33100L38stedc_mergePrepare_DeflateCount_kernelIdEEviiPT_lS3_Pi.num_agpr, 0
	.set _ZN9rocsolver6v33100L38stedc_mergePrepare_DeflateCount_kernelIdEEviiPT_lS3_Pi.numbered_sgpr, 30
	.set _ZN9rocsolver6v33100L38stedc_mergePrepare_DeflateCount_kernelIdEEviiPT_lS3_Pi.num_named_barrier, 0
	.set _ZN9rocsolver6v33100L38stedc_mergePrepare_DeflateCount_kernelIdEEviiPT_lS3_Pi.private_seg_size, 0
	.set _ZN9rocsolver6v33100L38stedc_mergePrepare_DeflateCount_kernelIdEEviiPT_lS3_Pi.uses_vcc, 1
	.set _ZN9rocsolver6v33100L38stedc_mergePrepare_DeflateCount_kernelIdEEviiPT_lS3_Pi.uses_flat_scratch, 0
	.set _ZN9rocsolver6v33100L38stedc_mergePrepare_DeflateCount_kernelIdEEviiPT_lS3_Pi.has_dyn_sized_stack, 0
	.set _ZN9rocsolver6v33100L38stedc_mergePrepare_DeflateCount_kernelIdEEviiPT_lS3_Pi.has_recursion, 0
	.set _ZN9rocsolver6v33100L38stedc_mergePrepare_DeflateCount_kernelIdEEviiPT_lS3_Pi.has_indirect_call, 0
	.section	.AMDGPU.csdata,"",@progbits
; Kernel info:
; codeLenInByte = 1140
; TotalNumSgprs: 34
; NumVgprs: 19
; ScratchSize: 0
; MemoryBound: 0
; FloatMode: 240
; IeeeMode: 1
; LDSByteSize: 49152 bytes/workgroup (compile time only)
; SGPRBlocks: 12
; VGPRBlocks: 21
; NumSGPRsForWavesPerEU: 102
; NumVGPRsForWavesPerEU: 85
; Occupancy: 2
; WaveLimiterHint : 0
; COMPUTE_PGM_RSRC2:SCRATCH_EN: 0
; COMPUTE_PGM_RSRC2:USER_SGPR: 6
; COMPUTE_PGM_RSRC2:TRAP_HANDLER: 0
; COMPUTE_PGM_RSRC2:TGID_X_EN: 1
; COMPUTE_PGM_RSRC2:TGID_Y_EN: 1
; COMPUTE_PGM_RSRC2:TGID_Z_EN: 0
; COMPUTE_PGM_RSRC2:TIDIG_COMP_CNT: 0
	.section	.text._ZN9rocsolver6v33100L38stedc_mergePrepare_DeflateApply_kernelIdEEviiPT_lS3_Pi,"axG",@progbits,_ZN9rocsolver6v33100L38stedc_mergePrepare_DeflateApply_kernelIdEEviiPT_lS3_Pi,comdat
	.globl	_ZN9rocsolver6v33100L38stedc_mergePrepare_DeflateApply_kernelIdEEviiPT_lS3_Pi ; -- Begin function _ZN9rocsolver6v33100L38stedc_mergePrepare_DeflateApply_kernelIdEEviiPT_lS3_Pi
	.p2align	8
	.type	_ZN9rocsolver6v33100L38stedc_mergePrepare_DeflateApply_kernelIdEEviiPT_lS3_Pi,@function
_ZN9rocsolver6v33100L38stedc_mergePrepare_DeflateApply_kernelIdEEviiPT_lS3_Pi: ; @_ZN9rocsolver6v33100L38stedc_mergePrepare_DeflateApply_kernelIdEEviiPT_lS3_Pi
; %bb.0:
	s_load_dword s8, s[4:5], 0x4
	s_load_dwordx4 s[0:3], s[4:5], 0x18
	s_load_dword s17, s[4:5], 0x34
	s_waitcnt lgkmcnt(0)
	s_mul_i32 s18, s7, s8
	s_mul_i32 s4, s18, 13
	s_ashr_i32 s5, s4, 31
	s_lshl_b64 s[10:11], s[4:5], 2
	s_add_u32 s7, s2, s10
	s_addc_u32 s9, s3, s11
	s_lshl_b32 s4, s8, 3
	s_ashr_i32 s5, s4, 31
	s_lshl_b64 s[12:13], s[4:5], 2
	s_add_u32 s14, s7, s12
	s_addc_u32 s15, s9, s13
	s_ashr_i32 s9, s8, 31
	s_lshl_b64 s[4:5], s[8:9], 3
	s_add_u32 s16, s14, s4
	s_addc_u32 s23, s15, s5
	s_and_b32 s20, s17, 0xffff
	s_mul_i32 s17, s6, s20
	v_add_u32_e32 v1, s17, v0
	v_cmp_le_i32_e32 vcc, s8, v1
	v_ashrrev_i32_e32 v2, 31, v1
	s_and_saveexec_b64 s[6:7], vcc
	s_xor_b64 s[6:7], exec, s[6:7]
	s_or_saveexec_b64 s[6:7], s[6:7]
	v_mov_b32_e32 v19, 0
	s_xor_b64 exec, exec, s[6:7]
	s_cbranch_execz .LBB41_2
; %bb.1:
	s_lshl_b64 s[24:25], s[8:9], 2
	s_sub_u32 s9, 0, s24
	s_subb_u32 s19, 0, s25
	s_add_u32 s9, s16, s9
	v_lshlrev_b64 v[3:4], 2, v[1:2]
	s_addc_u32 s19, s23, s19
	v_mov_b32_e32 v5, s19
	v_add_co_u32_e32 v3, vcc, s9, v3
	v_addc_co_u32_e32 v4, vcc, v5, v4, vcc
	global_load_dword v19, v[3:4], off
.LBB41_2:
	s_or_b64 exec, exec, s[6:7]
	s_mul_i32 s6, s18, 10
	s_ashr_i32 s7, s6, 31
	s_lshl_b64 s[6:7], s[6:7], 3
	s_add_u32 s18, s0, s6
	s_addc_u32 s19, s1, s7
	s_lshl_b32 s6, s20, 2
	s_add_u32 s0, s4, s10
	s_addc_u32 s1, s5, s11
	s_add_u32 s0, s0, s12
	s_addc_u32 s1, s1, s13
	v_lshlrev_b64 v[1:2], 2, v[1:2]
	s_add_u32 s0, s2, s0
	s_addc_u32 s1, s3, s1
	v_lshlrev_b32_e32 v20, 2, v0
	v_mov_b32_e32 v3, s1
	v_add_co_u32_e32 v1, vcc, s0, v1
	v_lshlrev_b32_e32 v6, 3, v0
	v_or_b32_e32 v7, 0x8000, v20
	v_addc_co_u32_e32 v2, vcc, v3, v2, vcc
	s_lshl_b32 s7, s20, 3
	s_mov_b64 s[0:1], 0
	s_movk_i32 s9, 0xfff
	v_mov_b32_e32 v8, v6
	v_mov_b32_e32 v9, v0
	s_branch .LBB41_4
.LBB41_3:                               ;   in Loop: Header=BB41_4 Depth=1
	s_or_b64 exec, exec, s[2:3]
	v_add_co_u32_e32 v1, vcc, s6, v1
	v_add_u32_e32 v9, s20, v9
	v_addc_co_u32_e32 v2, vcc, 0, v2, vcc
	v_cmp_lt_u32_e32 vcc, s9, v9
	ds_write_b32 v7, v3
	s_waitcnt vmcnt(0)
	ds_write_b64 v8, v[4:5]
	v_add_u32_e32 v7, s6, v7
	s_or_b64 s[0:1], vcc, s[0:1]
	v_add_u32_e32 v8, s7, v8
	s_andn2_b64 exec, exec, s[0:1]
	s_cbranch_execz .LBB41_6
.LBB41_4:                               ; =>This Inner Loop Header: Depth=1
	v_add_u32_e32 v3, s17, v9
	v_mov_b32_e32 v4, 0
	v_cmp_gt_i32_e32 vcc, s8, v3
	v_mov_b32_e32 v5, 0
	v_mov_b32_e32 v3, 0
	s_and_saveexec_b64 s[2:3], vcc
	s_cbranch_execz .LBB41_3
; %bb.5:                                ;   in Loop: Header=BB41_4 Depth=1
	global_load_dword v3, v[1:2], off
	v_mov_b32_e32 v10, s19
	s_waitcnt vmcnt(0)
	v_ashrrev_i32_e32 v4, 31, v3
	v_lshlrev_b64 v[4:5], 3, v[3:4]
	v_add_co_u32_e32 v4, vcc, s18, v4
	v_addc_co_u32_e32 v5, vcc, v10, v5, vcc
	global_load_dwordx2 v[4:5], v[4:5], off
	s_branch .LBB41_3
.LBB41_6:
	s_or_b64 exec, exec, s[0:1]
	v_cmp_ne_u32_e32 vcc, 0, v19
	s_waitcnt lgkmcnt(0)
	s_barrier
	s_and_saveexec_b64 s[0:1], vcc
	s_cbranch_execz .LBB41_22
; %bb.7:
	v_lshlrev_b32_e32 v1, 3, v0
	ds_read_b64 v[1:2], v1
	v_cmp_lt_i32_e32 vcc, 0, v19
	s_and_saveexec_b64 s[2:3], vcc
	s_cbranch_execz .LBB41_21
; %bb.8:
	s_lshl_b32 s6, s8, 1
	s_ashr_i32 s7, s6, 31
	s_lshl_b64 s[6:7], s[6:7], 3
	s_add_u32 s12, s18, s6
	s_addc_u32 s13, s19, s7
	s_mov_b64 s[0:1], src_shared_base
	s_add_u32 s20, s12, s4
	s_mov_b32 s6, 0
	s_addc_u32 s21, s13, s5
	v_add_u32_e32 v21, 8, v6
	v_add_u32_e32 v22, 0x8004, v20
	;; [unrolled: 1-line block ×3, first 2 shown]
	s_mov_b64 s[4:5], 0
	s_movk_i32 s22, 0x1000
	v_mov_b32_e32 v23, s23
	v_mov_b32_e32 v24, s1
	;; [unrolled: 1-line block ×3, first 2 shown]
	s_brev_b32 s7, 8
	v_mov_b32_e32 v26, 0x260
	v_mov_b32_e32 v27, 0x100
	;; [unrolled: 1-line block ×4, first 2 shown]
	s_branch .LBB41_11
.LBB41_9:                               ;   in Loop: Header=BB41_11 Depth=1
	s_or_b64 exec, exec, s[8:9]
	v_mov_b32_e32 v1, v17
	v_mov_b32_e32 v2, v18
.LBB41_10:                              ;   in Loop: Header=BB41_11 Depth=1
	s_or_b64 exec, exec, s[0:1]
	v_lshlrev_b64 v[9:10], 2, v[9:10]
	v_mov_b32_e32 v4, s15
	v_add_co_u32_e32 v9, vcc, s14, v9
	v_addc_co_u32_e32 v10, vcc, v4, v10, vcc
	v_mov_b32_e32 v4, v3
	global_store_dwordx2 v[7:8], v[3:4], off
	v_mov_b32_e32 v4, s13
	v_add_co_u32_e32 v7, vcc, s12, v5
	v_addc_co_u32_e32 v8, vcc, v4, v6, vcc
	global_store_dwordx2 v[7:8], v[15:16], off
	v_mov_b32_e32 v7, s21
	v_add_co_u32_e32 v4, vcc, s20, v5
	v_addc_co_u32_e32 v5, vcc, v7, v6, vcc
	v_add_u32_e32 v19, -1, v19
	v_cmp_eq_u32_e32 vcc, 0, v19
	v_add_u32_e32 v21, 8, v21
	v_add_u32_e32 v22, 4, v22
	s_or_b64 s[4:5], vcc, s[4:5]
	v_add_u32_e32 v0, 1, v0
	global_store_dword v[9:10], v3, off
	global_store_dwordx2 v[4:5], v[13:14], off
	s_andn2_b64 exec, exec, s[4:5]
	s_cbranch_execz .LBB41_20
.LBB41_11:                              ; =>This Inner Loop Header: Depth=1
	v_add_u32_e32 v4, s17, v0
	v_ashrrev_i32_e32 v5, 31, v4
	v_lshlrev_b64 v[4:5], 2, v[4:5]
	v_mov_b32_e32 v13, 0
	v_add_co_u32_e32 v4, vcc, s16, v4
	v_addc_co_u32_e32 v5, vcc, v23, v5, vcc
	v_cmp_gt_i32_e32 vcc, s22, v0
	v_cndmask_b32_e32 v5, v5, v24, vcc
	v_cndmask_b32_e32 v4, v4, v22, vcc
	flat_load_dword v9, v[4:5]
	v_mov_b32_e32 v15, 0
	v_mov_b32_e32 v14, 0
	;; [unrolled: 1-line block ×3, first 2 shown]
	s_waitcnt vmcnt(0) lgkmcnt(0)
	v_ashrrev_i32_e32 v10, 31, v9
	v_lshlrev_b64 v[5:6], 3, v[9:10]
	v_add_co_u32_e64 v7, s[0:1], s18, v5
	v_addc_co_u32_e64 v8, s[0:1], v25, v6, s[0:1]
	v_cndmask_b32_e32 v12, v8, v24, vcc
	v_cndmask_b32_e32 v11, v7, v21, vcc
	flat_load_dwordx2 v[11:12], v[11:12]
	s_waitcnt vmcnt(0) lgkmcnt(0)
	v_cmp_neq_f64_e32 vcc, 0, v[11:12]
	s_and_saveexec_b64 s[0:1], vcc
	s_cbranch_execz .LBB41_10
; %bb.12:                               ;   in Loop: Header=BB41_11 Depth=1
	v_cmp_neq_f64_e32 vcc, 0, v[1:2]
	v_xor_b32_e32 v18, 0x80000000, v12
	v_mov_b32_e32 v17, v11
                                        ; implicit-def: $vgpr15_vgpr16
                                        ; implicit-def: $vgpr13_vgpr14
	s_and_saveexec_b64 s[8:9], vcc
	s_xor_b64 s[8:9], exec, s[8:9]
	s_cbranch_execz .LBB41_18
; %bb.13:                               ;   in Loop: Header=BB41_11 Depth=1
	v_cmp_ngt_f64_e64 s[10:11], |v[11:12]|, |v[1:2]|
                                        ; implicit-def: $vgpr15_vgpr16
                                        ; implicit-def: $vgpr13_vgpr14
	s_and_saveexec_b64 s[24:25], s[10:11]
	s_xor_b64 s[10:11], exec, s[24:25]
	s_cbranch_execz .LBB41_15
; %bb.14:                               ;   in Loop: Header=BB41_11 Depth=1
	v_div_scale_f64 v[13:14], s[24:25], v[1:2], v[1:2], -v[11:12]
	v_rcp_f64_e32 v[15:16], v[13:14]
	v_fma_f64 v[17:18], -v[13:14], v[15:16], 1.0
	v_fma_f64 v[15:16], v[15:16], v[17:18], v[15:16]
	v_div_scale_f64 v[17:18], vcc, -v[11:12], v[1:2], -v[11:12]
	v_fma_f64 v[29:30], -v[13:14], v[15:16], 1.0
	v_fma_f64 v[15:16], v[15:16], v[29:30], v[15:16]
	v_mul_f64 v[29:30], v[17:18], v[15:16]
	v_fma_f64 v[13:14], -v[13:14], v[29:30], v[17:18]
	v_div_fmas_f64 v[13:14], v[13:14], v[15:16], v[29:30]
	v_div_fixup_f64 v[13:14], v[13:14], v[1:2], -v[11:12]
	v_fma_f64 v[15:16], v[13:14], v[13:14], 1.0
	v_cmp_gt_f64_e32 vcc, s[6:7], v[15:16]
	v_cndmask_b32_e32 v4, 0, v27, vcc
	v_ldexp_f64 v[15:16], v[15:16], v4
	v_cndmask_b32_e32 v4, 0, v28, vcc
	v_rsq_f64_e32 v[17:18], v[15:16]
	v_cmp_class_f64_e32 vcc, v[15:16], v26
	v_mul_f64 v[29:30], v[15:16], v[17:18]
	v_mul_f64 v[17:18], v[17:18], 0.5
	v_fma_f64 v[31:32], -v[17:18], v[29:30], 0.5
	v_fma_f64 v[29:30], v[29:30], v[31:32], v[29:30]
	v_fma_f64 v[17:18], v[17:18], v[31:32], v[17:18]
	v_fma_f64 v[31:32], -v[29:30], v[29:30], v[15:16]
	v_fma_f64 v[29:30], v[31:32], v[17:18], v[29:30]
	v_fma_f64 v[31:32], -v[29:30], v[29:30], v[15:16]
	v_fma_f64 v[17:18], v[31:32], v[17:18], v[29:30]
	v_ldexp_f64 v[17:18], v[17:18], v4
	v_cndmask_b32_e32 v16, v18, v16, vcc
	v_cndmask_b32_e32 v15, v17, v15, vcc
	v_div_scale_f64 v[17:18], s[24:25], v[15:16], v[15:16], 1.0
	v_div_scale_f64 v[33:34], vcc, 1.0, v[15:16], 1.0
	v_rcp_f64_e32 v[29:30], v[17:18]
	v_fma_f64 v[31:32], -v[17:18], v[29:30], 1.0
	v_fma_f64 v[29:30], v[29:30], v[31:32], v[29:30]
	v_fma_f64 v[31:32], -v[17:18], v[29:30], 1.0
	v_fma_f64 v[29:30], v[29:30], v[31:32], v[29:30]
	v_mul_f64 v[31:32], v[33:34], v[29:30]
	v_fma_f64 v[17:18], -v[17:18], v[31:32], v[33:34]
	v_div_fmas_f64 v[17:18], v[17:18], v[29:30], v[31:32]
	v_div_fixup_f64 v[15:16], v[17:18], v[15:16], 1.0
	v_mul_f64 v[13:14], v[13:14], v[15:16]
.LBB41_15:                              ;   in Loop: Header=BB41_11 Depth=1
	s_andn2_saveexec_b64 s[10:11], s[10:11]
	s_cbranch_execz .LBB41_17
; %bb.16:                               ;   in Loop: Header=BB41_11 Depth=1
	v_div_scale_f64 v[13:14], s[24:25], v[11:12], v[11:12], -v[1:2]
	v_rcp_f64_e32 v[15:16], v[13:14]
	v_fma_f64 v[17:18], -v[13:14], v[15:16], 1.0
	v_fma_f64 v[15:16], v[15:16], v[17:18], v[15:16]
	v_div_scale_f64 v[17:18], vcc, -v[1:2], v[11:12], -v[1:2]
	v_fma_f64 v[29:30], -v[13:14], v[15:16], 1.0
	v_fma_f64 v[15:16], v[15:16], v[29:30], v[15:16]
	v_mul_f64 v[29:30], v[17:18], v[15:16]
	v_fma_f64 v[13:14], -v[13:14], v[29:30], v[17:18]
	v_div_fmas_f64 v[13:14], v[13:14], v[15:16], v[29:30]
	v_div_fixup_f64 v[15:16], v[13:14], v[11:12], -v[1:2]
	v_fma_f64 v[13:14], v[15:16], v[15:16], 1.0
	v_cmp_gt_f64_e32 vcc, s[6:7], v[13:14]
	v_cndmask_b32_e32 v4, 0, v27, vcc
	v_ldexp_f64 v[13:14], v[13:14], v4
	v_cndmask_b32_e32 v4, 0, v28, vcc
	v_rsq_f64_e32 v[17:18], v[13:14]
	v_cmp_class_f64_e32 vcc, v[13:14], v26
	v_mul_f64 v[29:30], v[13:14], v[17:18]
	v_mul_f64 v[17:18], v[17:18], 0.5
	v_fma_f64 v[31:32], -v[17:18], v[29:30], 0.5
	v_fma_f64 v[29:30], v[29:30], v[31:32], v[29:30]
	v_fma_f64 v[17:18], v[17:18], v[31:32], v[17:18]
	v_fma_f64 v[31:32], -v[29:30], v[29:30], v[13:14]
	v_fma_f64 v[29:30], v[31:32], v[17:18], v[29:30]
	v_fma_f64 v[31:32], -v[29:30], v[29:30], v[13:14]
	v_fma_f64 v[17:18], v[31:32], v[17:18], v[29:30]
	v_ldexp_f64 v[17:18], v[17:18], v4
	v_cndmask_b32_e32 v14, v18, v14, vcc
	v_cndmask_b32_e32 v13, v17, v13, vcc
	v_div_scale_f64 v[17:18], s[24:25], v[13:14], v[13:14], 1.0
	v_div_scale_f64 v[33:34], vcc, 1.0, v[13:14], 1.0
	v_rcp_f64_e32 v[29:30], v[17:18]
	v_fma_f64 v[31:32], -v[17:18], v[29:30], 1.0
	v_fma_f64 v[29:30], v[29:30], v[31:32], v[29:30]
	v_fma_f64 v[31:32], -v[17:18], v[29:30], 1.0
	v_fma_f64 v[29:30], v[29:30], v[31:32], v[29:30]
	v_mul_f64 v[31:32], v[33:34], v[29:30]
	v_fma_f64 v[17:18], -v[17:18], v[31:32], v[33:34]
	v_div_fmas_f64 v[17:18], v[17:18], v[29:30], v[31:32]
	v_div_fixup_f64 v[13:14], v[17:18], v[13:14], 1.0
	v_mul_f64 v[15:16], v[15:16], v[13:14]
.LBB41_17:                              ;   in Loop: Header=BB41_11 Depth=1
	s_or_b64 exec, exec, s[10:11]
	v_mul_f64 v[11:12], v[11:12], v[13:14]
	v_fma_f64 v[17:18], v[1:2], v[15:16], -v[11:12]
.LBB41_18:                              ;   in Loop: Header=BB41_11 Depth=1
	s_andn2_saveexec_b64 s[8:9], s[8:9]
	s_cbranch_execz .LBB41_9
; %bb.19:                               ;   in Loop: Header=BB41_11 Depth=1
	v_mov_b32_e32 v13, 0
	v_mov_b32_e32 v15, 0
	v_mov_b32_e32 v14, 0x3ff00000
	v_mov_b32_e32 v16, 0
	s_branch .LBB41_9
.LBB41_20:
	s_or_b64 exec, exec, s[4:5]
.LBB41_21:
	s_or_b64 exec, exec, s[2:3]
	ds_read_b32 v3, v20 offset:32768
	v_mov_b32_e32 v0, s19
	s_waitcnt lgkmcnt(0)
	v_ashrrev_i32_e32 v4, 31, v3
	v_lshlrev_b64 v[3:4], 3, v[3:4]
	v_add_co_u32_e32 v3, vcc, s18, v3
	v_addc_co_u32_e32 v4, vcc, v0, v4, vcc
	global_store_dwordx2 v[3:4], v[1:2], off
.LBB41_22:
	s_endpgm
	.section	.rodata,"a",@progbits
	.p2align	6, 0x0
	.amdhsa_kernel _ZN9rocsolver6v33100L38stedc_mergePrepare_DeflateApply_kernelIdEEviiPT_lS3_Pi
		.amdhsa_group_segment_fixed_size 49152
		.amdhsa_private_segment_fixed_size 0
		.amdhsa_kernarg_size 296
		.amdhsa_user_sgpr_count 6
		.amdhsa_user_sgpr_private_segment_buffer 1
		.amdhsa_user_sgpr_dispatch_ptr 0
		.amdhsa_user_sgpr_queue_ptr 0
		.amdhsa_user_sgpr_kernarg_segment_ptr 1
		.amdhsa_user_sgpr_dispatch_id 0
		.amdhsa_user_sgpr_flat_scratch_init 0
		.amdhsa_user_sgpr_private_segment_size 0
		.amdhsa_uses_dynamic_stack 0
		.amdhsa_system_sgpr_private_segment_wavefront_offset 0
		.amdhsa_system_sgpr_workgroup_id_x 1
		.amdhsa_system_sgpr_workgroup_id_y 1
		.amdhsa_system_sgpr_workgroup_id_z 0
		.amdhsa_system_sgpr_workgroup_info 0
		.amdhsa_system_vgpr_workitem_id 0
		.amdhsa_next_free_vgpr 85
		.amdhsa_next_free_sgpr 98
		.amdhsa_reserve_vcc 1
		.amdhsa_reserve_flat_scratch 0
		.amdhsa_float_round_mode_32 0
		.amdhsa_float_round_mode_16_64 0
		.amdhsa_float_denorm_mode_32 3
		.amdhsa_float_denorm_mode_16_64 3
		.amdhsa_dx10_clamp 1
		.amdhsa_ieee_mode 1
		.amdhsa_fp16_overflow 0
		.amdhsa_exception_fp_ieee_invalid_op 0
		.amdhsa_exception_fp_denorm_src 0
		.amdhsa_exception_fp_ieee_div_zero 0
		.amdhsa_exception_fp_ieee_overflow 0
		.amdhsa_exception_fp_ieee_underflow 0
		.amdhsa_exception_fp_ieee_inexact 0
		.amdhsa_exception_int_div_zero 0
	.end_amdhsa_kernel
	.section	.text._ZN9rocsolver6v33100L38stedc_mergePrepare_DeflateApply_kernelIdEEviiPT_lS3_Pi,"axG",@progbits,_ZN9rocsolver6v33100L38stedc_mergePrepare_DeflateApply_kernelIdEEviiPT_lS3_Pi,comdat
.Lfunc_end41:
	.size	_ZN9rocsolver6v33100L38stedc_mergePrepare_DeflateApply_kernelIdEEviiPT_lS3_Pi, .Lfunc_end41-_ZN9rocsolver6v33100L38stedc_mergePrepare_DeflateApply_kernelIdEEviiPT_lS3_Pi
                                        ; -- End function
	.set _ZN9rocsolver6v33100L38stedc_mergePrepare_DeflateApply_kernelIdEEviiPT_lS3_Pi.num_vgpr, 35
	.set _ZN9rocsolver6v33100L38stedc_mergePrepare_DeflateApply_kernelIdEEviiPT_lS3_Pi.num_agpr, 0
	.set _ZN9rocsolver6v33100L38stedc_mergePrepare_DeflateApply_kernelIdEEviiPT_lS3_Pi.numbered_sgpr, 26
	.set _ZN9rocsolver6v33100L38stedc_mergePrepare_DeflateApply_kernelIdEEviiPT_lS3_Pi.num_named_barrier, 0
	.set _ZN9rocsolver6v33100L38stedc_mergePrepare_DeflateApply_kernelIdEEviiPT_lS3_Pi.private_seg_size, 0
	.set _ZN9rocsolver6v33100L38stedc_mergePrepare_DeflateApply_kernelIdEEviiPT_lS3_Pi.uses_vcc, 1
	.set _ZN9rocsolver6v33100L38stedc_mergePrepare_DeflateApply_kernelIdEEviiPT_lS3_Pi.uses_flat_scratch, 0
	.set _ZN9rocsolver6v33100L38stedc_mergePrepare_DeflateApply_kernelIdEEviiPT_lS3_Pi.has_dyn_sized_stack, 0
	.set _ZN9rocsolver6v33100L38stedc_mergePrepare_DeflateApply_kernelIdEEviiPT_lS3_Pi.has_recursion, 0
	.set _ZN9rocsolver6v33100L38stedc_mergePrepare_DeflateApply_kernelIdEEviiPT_lS3_Pi.has_indirect_call, 0
	.section	.AMDGPU.csdata,"",@progbits
; Kernel info:
; codeLenInByte = 1608
; TotalNumSgprs: 30
; NumVgprs: 35
; ScratchSize: 0
; MemoryBound: 0
; FloatMode: 240
; IeeeMode: 1
; LDSByteSize: 49152 bytes/workgroup (compile time only)
; SGPRBlocks: 12
; VGPRBlocks: 21
; NumSGPRsForWavesPerEU: 102
; NumVGPRsForWavesPerEU: 85
; Occupancy: 2
; WaveLimiterHint : 1
; COMPUTE_PGM_RSRC2:SCRATCH_EN: 0
; COMPUTE_PGM_RSRC2:USER_SGPR: 6
; COMPUTE_PGM_RSRC2:TRAP_HANDLER: 0
; COMPUTE_PGM_RSRC2:TGID_X_EN: 1
; COMPUTE_PGM_RSRC2:TGID_Y_EN: 1
; COMPUTE_PGM_RSRC2:TGID_Z_EN: 0
; COMPUTE_PGM_RSRC2:TIDIG_COMP_CNT: 0
	.section	.text._ZN9rocsolver6v33100L24stedc_mergeRotate_kernelIdEEviiPT_iilS3_Pi,"axG",@progbits,_ZN9rocsolver6v33100L24stedc_mergeRotate_kernelIdEEviiPT_iilS3_Pi,comdat
	.globl	_ZN9rocsolver6v33100L24stedc_mergeRotate_kernelIdEEviiPT_iilS3_Pi ; -- Begin function _ZN9rocsolver6v33100L24stedc_mergeRotate_kernelIdEEviiPT_iilS3_Pi
	.p2align	8
	.type	_ZN9rocsolver6v33100L24stedc_mergeRotate_kernelIdEEviiPT_iilS3_Pi,@function
_ZN9rocsolver6v33100L24stedc_mergeRotate_kernelIdEEviiPT_iilS3_Pi: ; @_ZN9rocsolver6v33100L24stedc_mergeRotate_kernelIdEEviiPT_iilS3_Pi
; %bb.0:
	s_mov_b64 s[62:63], s[2:3]
	s_mov_b64 s[60:61], s[0:1]
	s_add_u32 s60, s60, s8
	s_addc_u32 s61, s61, 0
	buffer_store_dword v0, off, s[60:63], 0 offset:288 ; 4-byte Folded Spill
	s_load_dword s34, s[4:5], 0x4
	s_load_dwordx2 s[2:3], s[4:5], 0x28
	s_load_dword s1, s[4:5], 0x3c
	s_mov_b32 s0, s6
	s_waitcnt lgkmcnt(0)
	s_mul_i32 s6, s7, s34
	s_mul_i32 s8, s6, 13
	s_ashr_i32 s9, s8, 31
	s_lshl_b64 s[8:9], s[8:9], 2
	s_add_u32 s6, s2, s8
	s_mul_i32 s12, s34, 10
	s_addc_u32 s14, s3, s9
	s_ashr_i32 s13, s12, 31
	s_lshl_b64 s[10:11], s[12:13], 2
	s_add_u32 s6, s6, s10
	s_addc_u32 s13, s14, s11
	s_ashr_i32 s35, s34, 31
	s_lshl_b64 s[14:15], s[34:35], 2
	s_sub_u32 s14, 0, s14
	s_subb_u32 s15, 0, s15
	s_add_u32 s14, s6, s14
	s_addc_u32 s15, s13, s15
	s_and_b32 s33, s1, 0xffff
	s_lshl_b32 s46, s33, 4
	v_cvt_f32_u32_e32 v0, s46
	s_ashr_i32 s1, s0, 31
	s_lshl_b64 s[0:1], s[0:1], 2
	s_add_u32 s14, s14, s0
	v_rcp_iflag_f32_e32 v0, v0
	s_addc_u32 s15, s15, s1
	s_load_dword s47, s[14:15], 0x0
	v_mul_f32_e32 v0, 0x4f7ffffe, v0
	v_cvt_u32_f32_e32 v0, v0
	s_waitcnt lgkmcnt(0)
	s_cmp_eq_u32 s47, 0
	v_readfirstlane_b32 s14, v0
	s_cbranch_scc1 .LBB42_136
; %bb.1:
	s_sub_i32 s17, 0, s46
	s_mul_i32 s17, s17, s14
	s_add_i32 s15, s34, -1
	s_mul_hi_u32 s17, s14, s17
	s_ashr_i32 s16, s15, 31
	s_abs_i32 s15, s15
	s_add_i32 s14, s14, s17
	s_mul_hi_u32 s14, s15, s14
	s_mul_i32 s17, s14, s46
	s_sub_i32 s15, s15, s17
	s_add_i32 s17, s14, 1
	s_sub_i32 s18, s15, s46
	s_cmp_ge_u32 s15, s46
	s_cselect_b32 s14, s17, s14
	s_cselect_b32 s15, s18, s15
	s_add_i32 s17, s14, 1
	s_cmp_ge_u32 s15, s46
	s_cselect_b32 s14, s17, s14
	s_xor_b32 s14, s14, s16
	s_sub_i32 s48, s14, s16
	s_cmp_lt_i32 s48, 0
	s_cbranch_scc1 .LBB42_136
; %bb.2:
	s_load_dwordx8 s[36:43], s[4:5], 0x8
	s_ashr_i32 s14, s7, 31
	v_mov_b32_e32 v2, 0
	s_mov_b32 s55, 0
	v_mov_b32_e32 v3, v2
	s_waitcnt lgkmcnt(0)
	s_mul_hi_u32 s15, s40, s7
	s_mul_i32 s14, s40, s14
	s_add_i32 s14, s15, s14
	s_mul_i32 s15, s41, s7
	s_add_i32 s15, s14, s15
	s_mul_i32 s14, s40, s7
	s_ashr_i32 s5, s38, 31
	s_lshl_b64 s[14:15], s[14:15], 3
	s_mov_b32 s4, s38
	s_add_u32 s14, s36, s14
	s_addc_u32 s15, s37, s15
	s_lshl_b64 s[4:5], s[4:5], 3
	s_add_u32 s38, s14, s4
	s_addc_u32 s49, s15, s5
	s_add_u32 s4, s6, s0
	s_addc_u32 s5, s13, s1
	s_load_dword s5, s[4:5], 0x0
	s_mul_i32 s4, s12, s7
	v_mov_b32_e32 v4, v2
	v_mov_b32_e32 v5, v2
	v_mov_b32_e32 v6, v2
	s_waitcnt lgkmcnt(0)
	s_mul_i32 s6, s5, s39
	s_ashr_i32 s7, s6, 31
	s_lshl_b64 s[6:7], s[6:7], 3
	s_add_u32 s50, s38, s6
	s_addc_u32 s51, s49, s7
	s_ashr_i32 s5, s4, 31
	s_lshl_b64 s[4:5], s[4:5], 3
	s_add_u32 s6, s42, s4
	s_addc_u32 s7, s43, s5
	s_lshl_b32 s4, s34, 1
	s_ashr_i32 s5, s4, 31
	s_lshl_b64 s[4:5], s[4:5], 3
	s_add_u32 s52, s6, s4
	s_addc_u32 s53, s7, s5
	s_lshl_b64 s[4:5], s[34:35], 3
	s_add_u32 s35, s52, s4
	s_addc_u32 s54, s53, s5
	s_cmp_gt_i32 s47, 0
	s_cselect_b64 s[36:37], -1, 0
	s_add_u32 s0, s0, s8
	s_addc_u32 s1, s1, s9
	s_add_u32 s0, s0, s10
	s_addc_u32 s1, s1, s11
	s_add_u32 s0, s2, s0
	s_addc_u32 s1, s3, s1
	s_add_u32 s40, s0, 4
	v_mov_b32_e32 v7, v2
	v_mov_b32_e32 v8, v2
	;; [unrolled: 1-line block ×28, first 2 shown]
	s_addc_u32 s41, s1, 0
	buffer_store_dword v0, off, s[60:63], 0 offset:24 ; 4-byte Folded Spill
	s_nop 0
	buffer_store_dword v1, off, s[60:63], 0 offset:28 ; 4-byte Folded Spill
	buffer_store_dword v2, off, s[60:63], 0 offset:32 ; 4-byte Folded Spill
	;; [unrolled: 1-line block ×31, first 2 shown]
                                        ; implicit-def: $vgpr66_vgpr67
                                        ; implicit-def: $vgpr68_vgpr69
                                        ; implicit-def: $vgpr70_vgpr71
                                        ; implicit-def: $vgpr72_vgpr73
                                        ; implicit-def: $vgpr74_vgpr75
                                        ; implicit-def: $vgpr76_vgpr77
                                        ; implicit-def: $vgpr78_vgpr79
                                        ; implicit-def: $vgpr80_vgpr81
                                        ; implicit-def: $vgpr82_vgpr83
                                        ; implicit-def: $vgpr84_vgpr85
                                        ; implicit-def: $vgpr86_vgpr87
                                        ; implicit-def: $vgpr88_vgpr89
                                        ; implicit-def: $vgpr90_vgpr91
                                        ; implicit-def: $vgpr92_vgpr93
                                        ; implicit-def: $vgpr94_vgpr95
                                        ; implicit-def: $vgpr96_vgpr97
	s_branch .LBB42_4
.LBB42_3:                               ;   in Loop: Header=BB42_4 Depth=1
	s_or_b64 exec, exec, s[0:1]
	s_add_i32 s0, s55, 1
	s_cmp_lg_u32 s55, s48
	s_mov_b32 s55, s0
	s_cbranch_scc0 .LBB42_136
.LBB42_4:                               ; =>This Loop Header: Depth=1
                                        ;     Child Loop BB42_39 Depth 2
	buffer_load_dword v0, off, s[60:63], 0 offset:288 ; 4-byte Folded Reload
	s_mul_i32 s0, s55, s46
	s_waitcnt vmcnt(0)
	v_add_u32_e32 v35, s0, v0
	v_cmp_gt_i32_e64 s[0:1], s34, v35
	v_ashrrev_i32_e32 v36, 31, v35
	s_and_saveexec_b64 s[2:3], s[0:1]
	s_cbranch_execz .LBB42_6
; %bb.5:                                ;   in Loop: Header=BB42_4 Depth=1
	v_lshlrev_b64 v[0:1], 3, v[35:36]
	v_mov_b32_e32 v34, s51
	v_add_co_u32_e32 v0, vcc, s50, v0
	v_addc_co_u32_e32 v1, vcc, v34, v1, vcc
	global_load_dwordx2 v[96:97], v[0:1], off
.LBB42_6:                               ;   in Loop: Header=BB42_4 Depth=1
	s_or_b64 exec, exec, s[2:3]
	v_add_u32_e32 v37, s33, v35
	v_cmp_gt_i32_e64 s[2:3], s34, v37
	v_ashrrev_i32_e32 v38, 31, v37
	s_and_saveexec_b64 s[4:5], s[2:3]
	s_cbranch_execz .LBB42_8
; %bb.7:                                ;   in Loop: Header=BB42_4 Depth=1
	v_lshlrev_b64 v[0:1], 3, v[37:38]
	v_mov_b32_e32 v34, s51
	v_add_co_u32_e32 v0, vcc, s50, v0
	v_addc_co_u32_e32 v1, vcc, v34, v1, vcc
	global_load_dwordx2 v[94:95], v[0:1], off
.LBB42_8:                               ;   in Loop: Header=BB42_4 Depth=1
	s_or_b64 exec, exec, s[4:5]
	v_add_u32_e32 v39, s33, v37
	v_cmp_gt_i32_e64 s[4:5], s34, v39
	v_ashrrev_i32_e32 v40, 31, v39
	s_and_saveexec_b64 s[6:7], s[4:5]
	s_cbranch_execz .LBB42_10
; %bb.9:                                ;   in Loop: Header=BB42_4 Depth=1
	v_lshlrev_b64 v[0:1], 3, v[39:40]
	v_mov_b32_e32 v34, s51
	v_add_co_u32_e32 v0, vcc, s50, v0
	v_addc_co_u32_e32 v1, vcc, v34, v1, vcc
	global_load_dwordx2 v[92:93], v[0:1], off
.LBB42_10:                              ;   in Loop: Header=BB42_4 Depth=1
	s_or_b64 exec, exec, s[6:7]
	v_add_u32_e32 v41, s33, v39
	v_cmp_gt_i32_e64 s[6:7], s34, v41
	v_ashrrev_i32_e32 v42, 31, v41
	s_and_saveexec_b64 s[8:9], s[6:7]
	s_cbranch_execz .LBB42_12
; %bb.11:                               ;   in Loop: Header=BB42_4 Depth=1
	v_lshlrev_b64 v[0:1], 3, v[41:42]
	v_mov_b32_e32 v34, s51
	v_add_co_u32_e32 v0, vcc, s50, v0
	v_addc_co_u32_e32 v1, vcc, v34, v1, vcc
	global_load_dwordx2 v[90:91], v[0:1], off
.LBB42_12:                              ;   in Loop: Header=BB42_4 Depth=1
	s_or_b64 exec, exec, s[8:9]
	v_add_u32_e32 v43, s33, v41
	v_cmp_gt_i32_e64 s[8:9], s34, v43
	v_ashrrev_i32_e32 v44, 31, v43
	s_and_saveexec_b64 s[10:11], s[8:9]
	s_cbranch_execz .LBB42_14
; %bb.13:                               ;   in Loop: Header=BB42_4 Depth=1
	v_lshlrev_b64 v[0:1], 3, v[43:44]
	v_mov_b32_e32 v34, s51
	v_add_co_u32_e32 v0, vcc, s50, v0
	v_addc_co_u32_e32 v1, vcc, v34, v1, vcc
	global_load_dwordx2 v[88:89], v[0:1], off
.LBB42_14:                              ;   in Loop: Header=BB42_4 Depth=1
	;; [unrolled: 13-line block ×12, first 2 shown]
	s_or_b64 exec, exec, s[30:31]
	v_add_u32_e32 v0, s33, v63
	v_cmp_gt_i32_e64 s[30:31], s34, v0
	v_ashrrev_i32_e32 v1, 31, v0
	buffer_store_dword v0, off, s[60:63], 0 offset:160 ; 4-byte Folded Spill
	s_nop 0
	buffer_store_dword v1, off, s[60:63], 0 offset:164 ; 4-byte Folded Spill
	s_and_saveexec_b64 s[42:43], s[30:31]
	s_cbranch_execz .LBB42_36
; %bb.35:                               ;   in Loop: Header=BB42_4 Depth=1
	buffer_load_dword v0, off, s[60:63], 0 offset:160 ; 4-byte Folded Reload
	buffer_load_dword v1, off, s[60:63], 0 offset:164 ; 4-byte Folded Reload
	v_mov_b32_e32 v34, s51
	s_waitcnt vmcnt(0)
	v_lshlrev_b64 v[0:1], 3, v[0:1]
	v_add_co_u32_e32 v0, vcc, s50, v0
	v_addc_co_u32_e32 v1, vcc, v34, v1, vcc
	global_load_dwordx2 v[66:67], v[0:1], off
.LBB42_36:                              ;   in Loop: Header=BB42_4 Depth=1
	s_or_b64 exec, exec, s[42:43]
	s_and_b64 vcc, exec, s[36:37]
	s_cbranch_vccz .LBB42_104
; %bb.37:                               ;   in Loop: Header=BB42_4 Depth=1
	buffer_store_dword v35, off, s[60:63], 0 offset:168 ; 4-byte Folded Spill
	s_nop 0
	buffer_store_dword v36, off, s[60:63], 0 offset:172 ; 4-byte Folded Spill
	s_mov_b32 s56, s47
	s_mov_b64 s[42:43], s[40:41]
	v_lshlrev_b64 v[0:1], 3, v[35:36]
	buffer_store_dword v0, off, s[60:63], 0 offset:8 ; 4-byte Folded Spill
	s_nop 0
	buffer_store_dword v1, off, s[60:63], 0 offset:12 ; 4-byte Folded Spill
	buffer_store_dword v37, off, s[60:63], 0 offset:176 ; 4-byte Folded Spill
	s_nop 0
	buffer_store_dword v38, off, s[60:63], 0 offset:180 ; 4-byte Folded Spill
	;; [unrolled: 3-line block ×15, first 2 shown]
	v_lshlrev_b64 v[104:105], 3, v[37:38]
	v_lshlrev_b64 v[106:107], 3, v[39:40]
	v_lshlrev_b64 v[108:109], 3, v[41:42]
	v_lshlrev_b64 v[110:111], 3, v[43:44]
	v_lshlrev_b64 v[112:113], 3, v[45:46]
	v_lshlrev_b64 v[114:115], 3, v[47:48]
	v_lshlrev_b64 v[116:117], 3, v[49:50]
	v_lshlrev_b64 v[118:119], 3, v[51:52]
	v_lshlrev_b64 v[120:121], 3, v[53:54]
	v_lshlrev_b64 v[122:123], 3, v[55:56]
	v_lshlrev_b64 v[124:125], 3, v[57:58]
	v_lshlrev_b64 v[126:127], 3, v[59:60]
	v_lshlrev_b64 v[98:99], 3, v[61:62]
	v_lshlrev_b64 v[0:1], 3, v[63:64]
	buffer_store_dword v0, off, s[60:63], 0 ; 4-byte Folded Spill
	s_nop 0
	buffer_store_dword v1, off, s[60:63], 0 offset:4 ; 4-byte Folded Spill
	buffer_load_dword v0, off, s[60:63], 0 offset:160 ; 4-byte Folded Reload
	s_nop 0
	buffer_load_dword v1, off, s[60:63], 0 offset:164 ; 4-byte Folded Reload
	s_waitcnt vmcnt(0)
	v_lshlrev_b64 v[0:1], 3, v[0:1]
	buffer_store_dword v0, off, s[60:63], 0 offset:16 ; 4-byte Folded Spill
	s_nop 0
	buffer_store_dword v1, off, s[60:63], 0 offset:20 ; 4-byte Folded Spill
	s_branch .LBB42_39
.LBB42_38:                              ;   in Loop: Header=BB42_39 Depth=2
	s_or_b64 exec, exec, s[44:45]
	v_mul_f64 v[2:3], v[100:101], v[2:3]
	s_add_u32 s42, s42, 4
	s_addc_u32 s43, s43, 0
	s_add_i32 s56, s56, -1
	s_cmp_eq_u32 s56, 0
	s_waitcnt vmcnt(0)
	s_barrier
	v_fma_f64 v[96:97], v[0:1], v[96:97], -v[2:3]
	v_mul_f64 v[2:3], v[100:101], v[4:5]
	v_fma_f64 v[94:95], v[0:1], v[94:95], -v[2:3]
	v_mul_f64 v[2:3], v[100:101], v[6:7]
	;; [unrolled: 2-line block ×15, first 2 shown]
	v_fma_f64 v[66:67], v[0:1], v[66:67], -v[2:3]
	v_mov_b32_e32 v2, v34
	v_mov_b32_e32 v3, v35
	;; [unrolled: 1-line block ×32, first 2 shown]
	s_cbranch_scc1 .LBB42_103
.LBB42_39:                              ;   Parent Loop BB42_4 Depth=1
                                        ; =>  This Inner Loop Header: Depth=2
	buffer_load_dword v34, off, s[60:63], 0 offset:24 ; 4-byte Folded Reload
	buffer_load_dword v35, off, s[60:63], 0 offset:28 ; 4-byte Folded Reload
	;; [unrolled: 1-line block ×32, first 2 shown]
	s_waitcnt vmcnt(29)
	v_mov_b32_e32 v36, s53
	s_waitcnt vmcnt(27)
	v_mov_b32_e32 v38, s54
	global_load_dword v34, v34, s[42:43]
	s_waitcnt vmcnt(0)
	v_ashrrev_i32_e32 v35, 31, v34
	v_lshlrev_b64 v[0:1], 3, v[34:35]
	v_readfirstlane_b32 s44, v34
	v_add_co_u32_e32 v35, vcc, s52, v0
	v_addc_co_u32_e32 v36, vcc, v36, v1, vcc
	v_add_co_u32_e32 v37, vcc, s35, v0
	v_addc_co_u32_e32 v38, vcc, v38, v1, vcc
	global_load_dwordx2 v[0:1], v[35:36], off
	global_load_dwordx2 v[100:101], v[37:38], off
	s_mul_i32 s44, s44, s39
	s_ashr_i32 s45, s44, 31
	s_lshl_b64 s[44:45], s[44:45], 3
	s_add_u32 s57, s38, s44
	s_addc_u32 s58, s49, s45
	s_and_saveexec_b64 s[44:45], s[0:1]
	s_cbranch_execnz .LBB42_88
; %bb.40:                               ;   in Loop: Header=BB42_39 Depth=2
	s_or_b64 exec, exec, s[44:45]
	s_and_saveexec_b64 s[44:45], s[2:3]
	s_cbranch_execnz .LBB42_89
.LBB42_41:                              ;   in Loop: Header=BB42_39 Depth=2
	s_or_b64 exec, exec, s[44:45]
	s_and_saveexec_b64 s[44:45], s[4:5]
	s_cbranch_execnz .LBB42_90
.LBB42_42:                              ;   in Loop: Header=BB42_39 Depth=2
	s_or_b64 exec, exec, s[44:45]
	s_and_saveexec_b64 s[44:45], s[6:7]
	s_cbranch_execnz .LBB42_91
.LBB42_43:                              ;   in Loop: Header=BB42_39 Depth=2
	s_or_b64 exec, exec, s[44:45]
	s_and_saveexec_b64 s[44:45], s[8:9]
	s_cbranch_execnz .LBB42_92
.LBB42_44:                              ;   in Loop: Header=BB42_39 Depth=2
	s_or_b64 exec, exec, s[44:45]
	s_and_saveexec_b64 s[44:45], s[10:11]
	s_cbranch_execnz .LBB42_93
.LBB42_45:                              ;   in Loop: Header=BB42_39 Depth=2
	s_or_b64 exec, exec, s[44:45]
	s_and_saveexec_b64 s[44:45], s[12:13]
	s_cbranch_execnz .LBB42_94
.LBB42_46:                              ;   in Loop: Header=BB42_39 Depth=2
	s_or_b64 exec, exec, s[44:45]
	s_and_saveexec_b64 s[44:45], s[14:15]
	s_cbranch_execnz .LBB42_95
.LBB42_47:                              ;   in Loop: Header=BB42_39 Depth=2
	s_or_b64 exec, exec, s[44:45]
	s_and_saveexec_b64 s[44:45], s[16:17]
	s_cbranch_execnz .LBB42_96
.LBB42_48:                              ;   in Loop: Header=BB42_39 Depth=2
	s_or_b64 exec, exec, s[44:45]
	s_and_saveexec_b64 s[44:45], s[18:19]
	s_cbranch_execnz .LBB42_97
.LBB42_49:                              ;   in Loop: Header=BB42_39 Depth=2
	s_or_b64 exec, exec, s[44:45]
	s_and_saveexec_b64 s[44:45], s[20:21]
	s_cbranch_execnz .LBB42_98
.LBB42_50:                              ;   in Loop: Header=BB42_39 Depth=2
	s_or_b64 exec, exec, s[44:45]
	s_and_saveexec_b64 s[44:45], s[22:23]
	s_cbranch_execnz .LBB42_99
.LBB42_51:                              ;   in Loop: Header=BB42_39 Depth=2
	s_or_b64 exec, exec, s[44:45]
	s_and_saveexec_b64 s[44:45], s[24:25]
	s_cbranch_execnz .LBB42_100
.LBB42_52:                              ;   in Loop: Header=BB42_39 Depth=2
	s_or_b64 exec, exec, s[44:45]
	s_and_saveexec_b64 s[44:45], s[26:27]
	s_cbranch_execnz .LBB42_101
.LBB42_53:                              ;   in Loop: Header=BB42_39 Depth=2
	s_or_b64 exec, exec, s[44:45]
	s_and_saveexec_b64 s[44:45], s[28:29]
	s_cbranch_execnz .LBB42_102
.LBB42_54:                              ;   in Loop: Header=BB42_39 Depth=2
	s_or_b64 exec, exec, s[44:45]
	s_and_saveexec_b64 s[44:45], s[30:31]
	s_cbranch_execz .LBB42_56
.LBB42_55:                              ;   in Loop: Header=BB42_39 Depth=2
	buffer_load_dword v34, off, s[60:63], 0 offset:16 ; 4-byte Folded Reload
	buffer_load_dword v35, off, s[60:63], 0 offset:20 ; 4-byte Folded Reload
	v_mov_b32_e32 v33, s58
	s_waitcnt vmcnt(1)
	v_add_co_u32_e32 v32, vcc, s57, v34
	s_waitcnt vmcnt(0)
	v_addc_co_u32_e32 v33, vcc, v33, v35, vcc
	global_load_dwordx2 v[32:33], v[32:33], off
.LBB42_56:                              ;   in Loop: Header=BB42_39 Depth=2
	s_or_b64 exec, exec, s[44:45]
	s_waitcnt vmcnt(0)
	v_mul_f64 v[34:35], v[100:101], v[96:97]
	v_fma_f64 v[34:35], v[0:1], v[2:3], v[34:35]
	s_and_saveexec_b64 s[44:45], s[0:1]
	s_cbranch_execz .LBB42_58
; %bb.57:                               ;   in Loop: Header=BB42_39 Depth=2
	buffer_load_dword v38, off, s[60:63], 0 offset:8 ; 4-byte Folded Reload
	buffer_load_dword v39, off, s[60:63], 0 offset:12 ; 4-byte Folded Reload
	v_mov_b32_e32 v37, s58
	s_waitcnt vmcnt(1)
	v_add_co_u32_e32 v36, vcc, s57, v38
	s_waitcnt vmcnt(0)
	v_addc_co_u32_e32 v37, vcc, v37, v39, vcc
	global_store_dwordx2 v[36:37], v[34:35], off
.LBB42_58:                              ;   in Loop: Header=BB42_39 Depth=2
	s_or_b64 exec, exec, s[44:45]
	v_mul_f64 v[36:37], v[100:101], v[94:95]
	v_fma_f64 v[36:37], v[0:1], v[4:5], v[36:37]
	s_and_saveexec_b64 s[44:45], s[2:3]
	s_cbranch_execz .LBB42_60
; %bb.59:                               ;   in Loop: Header=BB42_39 Depth=2
	v_mov_b32_e32 v39, s58
	v_add_co_u32_e32 v38, vcc, s57, v104
	v_addc_co_u32_e32 v39, vcc, v39, v105, vcc
	global_store_dwordx2 v[38:39], v[36:37], off
.LBB42_60:                              ;   in Loop: Header=BB42_39 Depth=2
	s_or_b64 exec, exec, s[44:45]
	v_mul_f64 v[38:39], v[100:101], v[92:93]
	v_fma_f64 v[38:39], v[0:1], v[6:7], v[38:39]
	s_and_saveexec_b64 s[44:45], s[4:5]
	s_cbranch_execz .LBB42_62
; %bb.61:                               ;   in Loop: Header=BB42_39 Depth=2
	v_mov_b32_e32 v41, s58
	v_add_co_u32_e32 v40, vcc, s57, v106
	v_addc_co_u32_e32 v41, vcc, v41, v107, vcc
	global_store_dwordx2 v[40:41], v[38:39], off
.LBB42_62:                              ;   in Loop: Header=BB42_39 Depth=2
	;; [unrolled: 11-line block ×13, first 2 shown]
	s_or_b64 exec, exec, s[44:45]
	v_mul_f64 v[62:63], v[100:101], v[68:69]
	v_fma_f64 v[62:63], v[0:1], v[30:31], v[62:63]
	s_and_saveexec_b64 s[44:45], s[28:29]
	s_cbranch_execz .LBB42_86
; %bb.85:                               ;   in Loop: Header=BB42_39 Depth=2
	buffer_load_dword v102, off, s[60:63], 0 ; 4-byte Folded Reload
	buffer_load_dword v103, off, s[60:63], 0 offset:4 ; 4-byte Folded Reload
	v_mov_b32_e32 v65, s58
	s_waitcnt vmcnt(1)
	v_add_co_u32_e32 v64, vcc, s57, v102
	s_waitcnt vmcnt(0)
	v_addc_co_u32_e32 v65, vcc, v65, v103, vcc
	global_store_dwordx2 v[64:65], v[62:63], off
.LBB42_86:                              ;   in Loop: Header=BB42_39 Depth=2
	s_or_b64 exec, exec, s[44:45]
	v_mul_f64 v[64:65], v[100:101], v[66:67]
	v_fma_f64 v[64:65], v[0:1], v[32:33], v[64:65]
	s_and_saveexec_b64 s[44:45], s[30:31]
	s_cbranch_execz .LBB42_38
; %bb.87:                               ;   in Loop: Header=BB42_39 Depth=2
	buffer_store_dword v96, off, s[60:63], 0 offset:152 ; 4-byte Folded Spill
	s_nop 0
	buffer_store_dword v97, off, s[60:63], 0 offset:156 ; 4-byte Folded Spill
	v_mov_b32_e32 v97, v95
	v_mov_b32_e32 v96, v94
	v_mov_b32_e32 v95, v93
	v_mov_b32_e32 v94, v92
	v_mov_b32_e32 v93, v91
	v_mov_b32_e32 v92, v90
	v_mov_b32_e32 v91, v89
	v_mov_b32_e32 v90, v88
	v_mov_b32_e32 v89, v87
	v_mov_b32_e32 v88, v86
	v_mov_b32_e32 v87, v85
	v_mov_b32_e32 v86, v84
	v_mov_b32_e32 v85, v83
	v_mov_b32_e32 v84, v82
	v_mov_b32_e32 v83, v81
	v_mov_b32_e32 v82, v80
	v_mov_b32_e32 v81, v79
	v_mov_b32_e32 v80, v78
	v_mov_b32_e32 v79, v77
	v_mov_b32_e32 v78, v76
	v_mov_b32_e32 v77, v75
	v_mov_b32_e32 v76, v74
	v_mov_b32_e32 v75, v73
	v_mov_b32_e32 v74, v72
	v_mov_b32_e32 v73, v71
	v_mov_b32_e32 v72, v70
	v_mov_b32_e32 v71, v69
	v_mov_b32_e32 v70, v68
	v_mov_b32_e32 v69, v67
	v_mov_b32_e32 v68, v66
	v_mov_b32_e32 v66, v98
	v_mov_b32_e32 v67, v99
	v_mov_b32_e32 v98, v126
	v_mov_b32_e32 v99, v127
	v_mov_b32_e32 v127, v125
	v_mov_b32_e32 v126, v124
	v_mov_b32_e32 v125, v123
	v_mov_b32_e32 v124, v122
	v_mov_b32_e32 v123, v121
	v_mov_b32_e32 v122, v120
	v_mov_b32_e32 v121, v119
	v_mov_b32_e32 v120, v118
	v_mov_b32_e32 v119, v117
	v_mov_b32_e32 v118, v116
	v_mov_b32_e32 v117, v115
	v_mov_b32_e32 v116, v114
	v_mov_b32_e32 v115, v113
	v_mov_b32_e32 v114, v112
	v_mov_b32_e32 v113, v111
	v_mov_b32_e32 v112, v110
	v_mov_b32_e32 v111, v109
	v_mov_b32_e32 v110, v108
	v_mov_b32_e32 v109, v107
	v_mov_b32_e32 v108, v106
	v_mov_b32_e32 v107, v105
	v_mov_b32_e32 v106, v104
	buffer_load_dword v104, off, s[60:63], 0 offset:16 ; 4-byte Folded Reload
	buffer_load_dword v105, off, s[60:63], 0 offset:20 ; 4-byte Folded Reload
	v_mov_b32_e32 v103, s58
	s_waitcnt vmcnt(1)
	v_add_co_u32_e32 v102, vcc, s57, v104
	s_waitcnt vmcnt(0)
	v_addc_co_u32_e32 v103, vcc, v103, v105, vcc
	v_mov_b32_e32 v104, v106
	v_mov_b32_e32 v105, v107
	v_mov_b32_e32 v106, v108
	v_mov_b32_e32 v107, v109
	v_mov_b32_e32 v108, v110
	v_mov_b32_e32 v109, v111
	v_mov_b32_e32 v110, v112
	v_mov_b32_e32 v111, v113
	v_mov_b32_e32 v112, v114
	v_mov_b32_e32 v113, v115
	v_mov_b32_e32 v114, v116
	v_mov_b32_e32 v115, v117
	v_mov_b32_e32 v116, v118
	v_mov_b32_e32 v117, v119
	v_mov_b32_e32 v118, v120
	v_mov_b32_e32 v119, v121
	v_mov_b32_e32 v120, v122
	v_mov_b32_e32 v121, v123
	v_mov_b32_e32 v122, v124
	v_mov_b32_e32 v123, v125
	v_mov_b32_e32 v124, v126
	v_mov_b32_e32 v125, v127
	v_mov_b32_e32 v127, v99
	v_mov_b32_e32 v126, v98
	v_mov_b32_e32 v99, v67
	v_mov_b32_e32 v98, v66
	v_mov_b32_e32 v66, v68
	v_mov_b32_e32 v67, v69
	v_mov_b32_e32 v68, v70
	v_mov_b32_e32 v69, v71
	v_mov_b32_e32 v70, v72
	v_mov_b32_e32 v71, v73
	v_mov_b32_e32 v72, v74
	v_mov_b32_e32 v73, v75
	v_mov_b32_e32 v74, v76
	v_mov_b32_e32 v75, v77
	v_mov_b32_e32 v76, v78
	v_mov_b32_e32 v77, v79
	v_mov_b32_e32 v78, v80
	v_mov_b32_e32 v79, v81
	v_mov_b32_e32 v80, v82
	v_mov_b32_e32 v81, v83
	v_mov_b32_e32 v82, v84
	v_mov_b32_e32 v83, v85
	v_mov_b32_e32 v84, v86
	v_mov_b32_e32 v85, v87
	v_mov_b32_e32 v86, v88
	v_mov_b32_e32 v87, v89
	v_mov_b32_e32 v88, v90
	v_mov_b32_e32 v89, v91
	v_mov_b32_e32 v90, v92
	v_mov_b32_e32 v91, v93
	v_mov_b32_e32 v92, v94
	global_store_dwordx2 v[102:103], v[64:65], off
	v_mov_b32_e32 v93, v95
	v_mov_b32_e32 v94, v96
	;; [unrolled: 1-line block ×3, first 2 shown]
	buffer_load_dword v96, off, s[60:63], 0 offset:152 ; 4-byte Folded Reload
	buffer_load_dword v97, off, s[60:63], 0 offset:156 ; 4-byte Folded Reload
	s_branch .LBB42_38
.LBB42_88:                              ;   in Loop: Header=BB42_39 Depth=2
	buffer_load_dword v34, off, s[60:63], 0 offset:8 ; 4-byte Folded Reload
	buffer_load_dword v35, off, s[60:63], 0 offset:12 ; 4-byte Folded Reload
	v_mov_b32_e32 v3, s58
	s_waitcnt vmcnt(1)
	v_add_co_u32_e32 v2, vcc, s57, v34
	s_waitcnt vmcnt(0)
	v_addc_co_u32_e32 v3, vcc, v3, v35, vcc
	global_load_dwordx2 v[2:3], v[2:3], off
	s_or_b64 exec, exec, s[44:45]
	s_and_saveexec_b64 s[44:45], s[2:3]
	s_cbranch_execz .LBB42_41
.LBB42_89:                              ;   in Loop: Header=BB42_39 Depth=2
	v_mov_b32_e32 v5, s58
	v_add_co_u32_e32 v4, vcc, s57, v104
	v_addc_co_u32_e32 v5, vcc, v5, v105, vcc
	global_load_dwordx2 v[4:5], v[4:5], off
	s_or_b64 exec, exec, s[44:45]
	s_and_saveexec_b64 s[44:45], s[4:5]
	s_cbranch_execz .LBB42_42
.LBB42_90:                              ;   in Loop: Header=BB42_39 Depth=2
	v_mov_b32_e32 v7, s58
	v_add_co_u32_e32 v6, vcc, s57, v106
	v_addc_co_u32_e32 v7, vcc, v7, v107, vcc
	global_load_dwordx2 v[6:7], v[6:7], off
	s_or_b64 exec, exec, s[44:45]
	s_and_saveexec_b64 s[44:45], s[6:7]
	s_cbranch_execz .LBB42_43
.LBB42_91:                              ;   in Loop: Header=BB42_39 Depth=2
	v_mov_b32_e32 v9, s58
	v_add_co_u32_e32 v8, vcc, s57, v108
	v_addc_co_u32_e32 v9, vcc, v9, v109, vcc
	global_load_dwordx2 v[8:9], v[8:9], off
	s_or_b64 exec, exec, s[44:45]
	s_and_saveexec_b64 s[44:45], s[8:9]
	s_cbranch_execz .LBB42_44
.LBB42_92:                              ;   in Loop: Header=BB42_39 Depth=2
	v_mov_b32_e32 v11, s58
	v_add_co_u32_e32 v10, vcc, s57, v110
	v_addc_co_u32_e32 v11, vcc, v11, v111, vcc
	global_load_dwordx2 v[10:11], v[10:11], off
	s_or_b64 exec, exec, s[44:45]
	s_and_saveexec_b64 s[44:45], s[10:11]
	s_cbranch_execz .LBB42_45
.LBB42_93:                              ;   in Loop: Header=BB42_39 Depth=2
	v_mov_b32_e32 v13, s58
	v_add_co_u32_e32 v12, vcc, s57, v112
	v_addc_co_u32_e32 v13, vcc, v13, v113, vcc
	global_load_dwordx2 v[12:13], v[12:13], off
	s_or_b64 exec, exec, s[44:45]
	s_and_saveexec_b64 s[44:45], s[12:13]
	s_cbranch_execz .LBB42_46
.LBB42_94:                              ;   in Loop: Header=BB42_39 Depth=2
	v_mov_b32_e32 v15, s58
	v_add_co_u32_e32 v14, vcc, s57, v114
	v_addc_co_u32_e32 v15, vcc, v15, v115, vcc
	global_load_dwordx2 v[14:15], v[14:15], off
	s_or_b64 exec, exec, s[44:45]
	s_and_saveexec_b64 s[44:45], s[14:15]
	s_cbranch_execz .LBB42_47
.LBB42_95:                              ;   in Loop: Header=BB42_39 Depth=2
	v_mov_b32_e32 v17, s58
	v_add_co_u32_e32 v16, vcc, s57, v116
	v_addc_co_u32_e32 v17, vcc, v17, v117, vcc
	global_load_dwordx2 v[16:17], v[16:17], off
	s_or_b64 exec, exec, s[44:45]
	s_and_saveexec_b64 s[44:45], s[16:17]
	s_cbranch_execz .LBB42_48
.LBB42_96:                              ;   in Loop: Header=BB42_39 Depth=2
	v_mov_b32_e32 v19, s58
	v_add_co_u32_e32 v18, vcc, s57, v118
	v_addc_co_u32_e32 v19, vcc, v19, v119, vcc
	global_load_dwordx2 v[18:19], v[18:19], off
	s_or_b64 exec, exec, s[44:45]
	s_and_saveexec_b64 s[44:45], s[18:19]
	s_cbranch_execz .LBB42_49
.LBB42_97:                              ;   in Loop: Header=BB42_39 Depth=2
	v_mov_b32_e32 v21, s58
	v_add_co_u32_e32 v20, vcc, s57, v120
	v_addc_co_u32_e32 v21, vcc, v21, v121, vcc
	global_load_dwordx2 v[20:21], v[20:21], off
	s_or_b64 exec, exec, s[44:45]
	s_and_saveexec_b64 s[44:45], s[20:21]
	s_cbranch_execz .LBB42_50
.LBB42_98:                              ;   in Loop: Header=BB42_39 Depth=2
	v_mov_b32_e32 v23, s58
	v_add_co_u32_e32 v22, vcc, s57, v122
	v_addc_co_u32_e32 v23, vcc, v23, v123, vcc
	global_load_dwordx2 v[22:23], v[22:23], off
	s_or_b64 exec, exec, s[44:45]
	s_and_saveexec_b64 s[44:45], s[22:23]
	s_cbranch_execz .LBB42_51
.LBB42_99:                              ;   in Loop: Header=BB42_39 Depth=2
	v_mov_b32_e32 v25, s58
	v_add_co_u32_e32 v24, vcc, s57, v124
	v_addc_co_u32_e32 v25, vcc, v25, v125, vcc
	global_load_dwordx2 v[24:25], v[24:25], off
	s_or_b64 exec, exec, s[44:45]
	s_and_saveexec_b64 s[44:45], s[24:25]
	s_cbranch_execz .LBB42_52
.LBB42_100:                             ;   in Loop: Header=BB42_39 Depth=2
	v_mov_b32_e32 v27, s58
	v_add_co_u32_e32 v26, vcc, s57, v126
	v_addc_co_u32_e32 v27, vcc, v27, v127, vcc
	global_load_dwordx2 v[26:27], v[26:27], off
	s_or_b64 exec, exec, s[44:45]
	s_and_saveexec_b64 s[44:45], s[26:27]
	s_cbranch_execz .LBB42_53
.LBB42_101:                             ;   in Loop: Header=BB42_39 Depth=2
	v_mov_b32_e32 v29, s58
	v_add_co_u32_e32 v28, vcc, s57, v98
	v_addc_co_u32_e32 v29, vcc, v29, v99, vcc
	global_load_dwordx2 v[28:29], v[28:29], off
	s_or_b64 exec, exec, s[44:45]
	s_and_saveexec_b64 s[44:45], s[28:29]
	s_cbranch_execz .LBB42_54
.LBB42_102:                             ;   in Loop: Header=BB42_39 Depth=2
	buffer_load_dword v34, off, s[60:63], 0 ; 4-byte Folded Reload
	buffer_load_dword v35, off, s[60:63], 0 offset:4 ; 4-byte Folded Reload
	v_mov_b32_e32 v31, s58
	s_waitcnt vmcnt(1)
	v_add_co_u32_e32 v30, vcc, s57, v34
	s_waitcnt vmcnt(0)
	v_addc_co_u32_e32 v31, vcc, v31, v35, vcc
	global_load_dwordx2 v[30:31], v[30:31], off
	s_or_b64 exec, exec, s[44:45]
	s_and_saveexec_b64 s[44:45], s[30:31]
	s_cbranch_execnz .LBB42_55
	s_branch .LBB42_56
.LBB42_103:                             ;   in Loop: Header=BB42_4 Depth=1
	buffer_load_dword v35, off, s[60:63], 0 offset:168 ; 4-byte Folded Reload
	buffer_load_dword v36, off, s[60:63], 0 offset:172 ; 4-byte Folded Reload
	;; [unrolled: 1-line block ×30, first 2 shown]
.LBB42_104:                             ;   in Loop: Header=BB42_4 Depth=1
	s_and_saveexec_b64 s[42:43], s[0:1]
	s_cbranch_execnz .LBB42_120
; %bb.105:                              ;   in Loop: Header=BB42_4 Depth=1
	s_or_b64 exec, exec, s[42:43]
	s_and_saveexec_b64 s[0:1], s[2:3]
	s_cbranch_execnz .LBB42_121
.LBB42_106:                             ;   in Loop: Header=BB42_4 Depth=1
	s_or_b64 exec, exec, s[0:1]
	s_and_saveexec_b64 s[0:1], s[4:5]
	s_cbranch_execnz .LBB42_122
.LBB42_107:                             ;   in Loop: Header=BB42_4 Depth=1
	s_or_b64 exec, exec, s[0:1]
	s_and_saveexec_b64 s[0:1], s[6:7]
	s_cbranch_execnz .LBB42_123
.LBB42_108:                             ;   in Loop: Header=BB42_4 Depth=1
	s_or_b64 exec, exec, s[0:1]
	s_and_saveexec_b64 s[0:1], s[8:9]
	s_cbranch_execnz .LBB42_124
.LBB42_109:                             ;   in Loop: Header=BB42_4 Depth=1
	s_or_b64 exec, exec, s[0:1]
	s_and_saveexec_b64 s[0:1], s[10:11]
	s_cbranch_execnz .LBB42_125
.LBB42_110:                             ;   in Loop: Header=BB42_4 Depth=1
	s_or_b64 exec, exec, s[0:1]
	s_and_saveexec_b64 s[0:1], s[12:13]
	s_cbranch_execnz .LBB42_126
.LBB42_111:                             ;   in Loop: Header=BB42_4 Depth=1
	s_or_b64 exec, exec, s[0:1]
	s_and_saveexec_b64 s[0:1], s[14:15]
	s_cbranch_execnz .LBB42_127
.LBB42_112:                             ;   in Loop: Header=BB42_4 Depth=1
	s_or_b64 exec, exec, s[0:1]
	s_and_saveexec_b64 s[0:1], s[16:17]
	s_cbranch_execnz .LBB42_128
.LBB42_113:                             ;   in Loop: Header=BB42_4 Depth=1
	s_or_b64 exec, exec, s[0:1]
	s_and_saveexec_b64 s[0:1], s[18:19]
	s_cbranch_execnz .LBB42_129
.LBB42_114:                             ;   in Loop: Header=BB42_4 Depth=1
	s_or_b64 exec, exec, s[0:1]
	s_and_saveexec_b64 s[0:1], s[20:21]
	s_cbranch_execnz .LBB42_130
.LBB42_115:                             ;   in Loop: Header=BB42_4 Depth=1
	s_or_b64 exec, exec, s[0:1]
	s_and_saveexec_b64 s[0:1], s[22:23]
	s_cbranch_execnz .LBB42_131
.LBB42_116:                             ;   in Loop: Header=BB42_4 Depth=1
	s_or_b64 exec, exec, s[0:1]
	s_and_saveexec_b64 s[0:1], s[24:25]
	s_cbranch_execnz .LBB42_132
.LBB42_117:                             ;   in Loop: Header=BB42_4 Depth=1
	s_or_b64 exec, exec, s[0:1]
	s_and_saveexec_b64 s[0:1], s[26:27]
	s_cbranch_execnz .LBB42_133
.LBB42_118:                             ;   in Loop: Header=BB42_4 Depth=1
	s_or_b64 exec, exec, s[0:1]
	s_and_saveexec_b64 s[0:1], s[28:29]
	s_cbranch_execnz .LBB42_134
.LBB42_119:                             ;   in Loop: Header=BB42_4 Depth=1
	s_or_b64 exec, exec, s[0:1]
	s_and_saveexec_b64 s[0:1], s[30:31]
	s_cbranch_execz .LBB42_3
	s_branch .LBB42_135
.LBB42_120:                             ;   in Loop: Header=BB42_4 Depth=1
	s_waitcnt vmcnt(28)
	v_lshlrev_b64 v[0:1], 3, v[35:36]
	v_mov_b32_e32 v34, s51
	v_add_co_u32_e32 v0, vcc, s50, v0
	v_addc_co_u32_e32 v1, vcc, v34, v1, vcc
	s_waitcnt vmcnt(2)
	global_store_dwordx2 v[0:1], v[96:97], off
	s_or_b64 exec, exec, s[42:43]
	s_and_saveexec_b64 s[0:1], s[2:3]
	s_cbranch_execz .LBB42_106
.LBB42_121:                             ;   in Loop: Header=BB42_4 Depth=1
	s_waitcnt vmcnt(26)
	v_lshlrev_b64 v[0:1], 3, v[37:38]
	v_mov_b32_e32 v34, s51
	v_add_co_u32_e32 v0, vcc, s50, v0
	v_addc_co_u32_e32 v1, vcc, v34, v1, vcc
	s_waitcnt vmcnt(2)
	global_store_dwordx2 v[0:1], v[94:95], off
	s_or_b64 exec, exec, s[0:1]
	s_and_saveexec_b64 s[0:1], s[4:5]
	s_cbranch_execz .LBB42_107
.LBB42_122:                             ;   in Loop: Header=BB42_4 Depth=1
	s_waitcnt vmcnt(24)
	v_lshlrev_b64 v[0:1], 3, v[39:40]
	v_mov_b32_e32 v34, s51
	v_add_co_u32_e32 v0, vcc, s50, v0
	v_addc_co_u32_e32 v1, vcc, v34, v1, vcc
	s_waitcnt vmcnt(2)
	global_store_dwordx2 v[0:1], v[92:93], off
	s_or_b64 exec, exec, s[0:1]
	s_and_saveexec_b64 s[0:1], s[6:7]
	s_cbranch_execz .LBB42_108
.LBB42_123:                             ;   in Loop: Header=BB42_4 Depth=1
	s_waitcnt vmcnt(22)
	v_lshlrev_b64 v[0:1], 3, v[41:42]
	v_mov_b32_e32 v34, s51
	v_add_co_u32_e32 v0, vcc, s50, v0
	v_addc_co_u32_e32 v1, vcc, v34, v1, vcc
	s_waitcnt vmcnt(2)
	global_store_dwordx2 v[0:1], v[90:91], off
	s_or_b64 exec, exec, s[0:1]
	s_and_saveexec_b64 s[0:1], s[8:9]
	s_cbranch_execz .LBB42_109
.LBB42_124:                             ;   in Loop: Header=BB42_4 Depth=1
	s_waitcnt vmcnt(20)
	v_lshlrev_b64 v[0:1], 3, v[43:44]
	v_mov_b32_e32 v34, s51
	v_add_co_u32_e32 v0, vcc, s50, v0
	v_addc_co_u32_e32 v1, vcc, v34, v1, vcc
	s_waitcnt vmcnt(2)
	global_store_dwordx2 v[0:1], v[88:89], off
	s_or_b64 exec, exec, s[0:1]
	s_and_saveexec_b64 s[0:1], s[10:11]
	s_cbranch_execz .LBB42_110
.LBB42_125:                             ;   in Loop: Header=BB42_4 Depth=1
	s_waitcnt vmcnt(18)
	v_lshlrev_b64 v[0:1], 3, v[45:46]
	v_mov_b32_e32 v34, s51
	v_add_co_u32_e32 v0, vcc, s50, v0
	v_addc_co_u32_e32 v1, vcc, v34, v1, vcc
	s_waitcnt vmcnt(2)
	global_store_dwordx2 v[0:1], v[86:87], off
	s_or_b64 exec, exec, s[0:1]
	s_and_saveexec_b64 s[0:1], s[12:13]
	s_cbranch_execz .LBB42_111
.LBB42_126:                             ;   in Loop: Header=BB42_4 Depth=1
	s_waitcnt vmcnt(16)
	v_lshlrev_b64 v[0:1], 3, v[47:48]
	v_mov_b32_e32 v34, s51
	v_add_co_u32_e32 v0, vcc, s50, v0
	v_addc_co_u32_e32 v1, vcc, v34, v1, vcc
	s_waitcnt vmcnt(2)
	global_store_dwordx2 v[0:1], v[84:85], off
	s_or_b64 exec, exec, s[0:1]
	s_and_saveexec_b64 s[0:1], s[14:15]
	s_cbranch_execz .LBB42_112
.LBB42_127:                             ;   in Loop: Header=BB42_4 Depth=1
	s_waitcnt vmcnt(14)
	v_lshlrev_b64 v[0:1], 3, v[49:50]
	v_mov_b32_e32 v34, s51
	v_add_co_u32_e32 v0, vcc, s50, v0
	v_addc_co_u32_e32 v1, vcc, v34, v1, vcc
	s_waitcnt vmcnt(2)
	global_store_dwordx2 v[0:1], v[82:83], off
	s_or_b64 exec, exec, s[0:1]
	s_and_saveexec_b64 s[0:1], s[16:17]
	s_cbranch_execz .LBB42_113
.LBB42_128:                             ;   in Loop: Header=BB42_4 Depth=1
	s_waitcnt vmcnt(12)
	v_lshlrev_b64 v[0:1], 3, v[51:52]
	v_mov_b32_e32 v34, s51
	v_add_co_u32_e32 v0, vcc, s50, v0
	v_addc_co_u32_e32 v1, vcc, v34, v1, vcc
	s_waitcnt vmcnt(2)
	global_store_dwordx2 v[0:1], v[80:81], off
	s_or_b64 exec, exec, s[0:1]
	s_and_saveexec_b64 s[0:1], s[18:19]
	s_cbranch_execz .LBB42_114
.LBB42_129:                             ;   in Loop: Header=BB42_4 Depth=1
	s_waitcnt vmcnt(10)
	v_lshlrev_b64 v[0:1], 3, v[53:54]
	v_mov_b32_e32 v34, s51
	v_add_co_u32_e32 v0, vcc, s50, v0
	v_addc_co_u32_e32 v1, vcc, v34, v1, vcc
	s_waitcnt vmcnt(2)
	global_store_dwordx2 v[0:1], v[78:79], off
	s_or_b64 exec, exec, s[0:1]
	s_and_saveexec_b64 s[0:1], s[20:21]
	s_cbranch_execz .LBB42_115
.LBB42_130:                             ;   in Loop: Header=BB42_4 Depth=1
	s_waitcnt vmcnt(8)
	v_lshlrev_b64 v[0:1], 3, v[55:56]
	v_mov_b32_e32 v34, s51
	v_add_co_u32_e32 v0, vcc, s50, v0
	v_addc_co_u32_e32 v1, vcc, v34, v1, vcc
	s_waitcnt vmcnt(2)
	global_store_dwordx2 v[0:1], v[76:77], off
	s_or_b64 exec, exec, s[0:1]
	s_and_saveexec_b64 s[0:1], s[22:23]
	s_cbranch_execz .LBB42_116
.LBB42_131:                             ;   in Loop: Header=BB42_4 Depth=1
	s_waitcnt vmcnt(6)
	v_lshlrev_b64 v[0:1], 3, v[57:58]
	v_mov_b32_e32 v34, s51
	v_add_co_u32_e32 v0, vcc, s50, v0
	v_addc_co_u32_e32 v1, vcc, v34, v1, vcc
	s_waitcnt vmcnt(2)
	global_store_dwordx2 v[0:1], v[74:75], off
	s_or_b64 exec, exec, s[0:1]
	s_and_saveexec_b64 s[0:1], s[24:25]
	s_cbranch_execz .LBB42_117
.LBB42_132:                             ;   in Loop: Header=BB42_4 Depth=1
	s_waitcnt vmcnt(4)
	v_lshlrev_b64 v[0:1], 3, v[59:60]
	v_mov_b32_e32 v34, s51
	v_add_co_u32_e32 v0, vcc, s50, v0
	v_addc_co_u32_e32 v1, vcc, v34, v1, vcc
	s_waitcnt vmcnt(2)
	global_store_dwordx2 v[0:1], v[72:73], off
	s_or_b64 exec, exec, s[0:1]
	s_and_saveexec_b64 s[0:1], s[26:27]
	s_cbranch_execz .LBB42_118
.LBB42_133:                             ;   in Loop: Header=BB42_4 Depth=1
	s_waitcnt vmcnt(2)
	v_lshlrev_b64 v[0:1], 3, v[61:62]
	v_mov_b32_e32 v34, s51
	v_add_co_u32_e32 v0, vcc, s50, v0
	v_addc_co_u32_e32 v1, vcc, v34, v1, vcc
	global_store_dwordx2 v[0:1], v[70:71], off
	s_or_b64 exec, exec, s[0:1]
	s_and_saveexec_b64 s[0:1], s[28:29]
	s_cbranch_execz .LBB42_119
.LBB42_134:                             ;   in Loop: Header=BB42_4 Depth=1
	s_waitcnt vmcnt(0)
	v_lshlrev_b64 v[0:1], 3, v[63:64]
	v_mov_b32_e32 v34, s51
	v_add_co_u32_e32 v0, vcc, s50, v0
	v_addc_co_u32_e32 v1, vcc, v34, v1, vcc
	global_store_dwordx2 v[0:1], v[68:69], off
	s_or_b64 exec, exec, s[0:1]
	s_and_saveexec_b64 s[0:1], s[30:31]
	s_cbranch_execz .LBB42_3
.LBB42_135:                             ;   in Loop: Header=BB42_4 Depth=1
	buffer_load_dword v0, off, s[60:63], 0 offset:160 ; 4-byte Folded Reload
	buffer_load_dword v1, off, s[60:63], 0 offset:164 ; 4-byte Folded Reload
	v_mov_b32_e32 v34, s51
	s_waitcnt vmcnt(0)
	v_lshlrev_b64 v[0:1], 3, v[0:1]
	v_add_co_u32_e32 v0, vcc, s50, v0
	v_addc_co_u32_e32 v1, vcc, v34, v1, vcc
	global_store_dwordx2 v[0:1], v[66:67], off
	s_branch .LBB42_3
.LBB42_136:
	s_endpgm
	.section	.rodata,"a",@progbits
	.p2align	6, 0x0
	.amdhsa_kernel _ZN9rocsolver6v33100L24stedc_mergeRotate_kernelIdEEviiPT_iilS3_Pi
		.amdhsa_group_segment_fixed_size 0
		.amdhsa_private_segment_fixed_size 296
		.amdhsa_kernarg_size 304
		.amdhsa_user_sgpr_count 6
		.amdhsa_user_sgpr_private_segment_buffer 1
		.amdhsa_user_sgpr_dispatch_ptr 0
		.amdhsa_user_sgpr_queue_ptr 0
		.amdhsa_user_sgpr_kernarg_segment_ptr 1
		.amdhsa_user_sgpr_dispatch_id 0
		.amdhsa_user_sgpr_flat_scratch_init 0
		.amdhsa_user_sgpr_private_segment_size 0
		.amdhsa_uses_dynamic_stack 0
		.amdhsa_system_sgpr_private_segment_wavefront_offset 1
		.amdhsa_system_sgpr_workgroup_id_x 1
		.amdhsa_system_sgpr_workgroup_id_y 1
		.amdhsa_system_sgpr_workgroup_id_z 0
		.amdhsa_system_sgpr_workgroup_info 0
		.amdhsa_system_vgpr_workitem_id 0
		.amdhsa_next_free_vgpr 128
		.amdhsa_next_free_sgpr 64
		.amdhsa_reserve_vcc 1
		.amdhsa_reserve_flat_scratch 0
		.amdhsa_float_round_mode_32 0
		.amdhsa_float_round_mode_16_64 0
		.amdhsa_float_denorm_mode_32 3
		.amdhsa_float_denorm_mode_16_64 3
		.amdhsa_dx10_clamp 1
		.amdhsa_ieee_mode 1
		.amdhsa_fp16_overflow 0
		.amdhsa_exception_fp_ieee_invalid_op 0
		.amdhsa_exception_fp_denorm_src 0
		.amdhsa_exception_fp_ieee_div_zero 0
		.amdhsa_exception_fp_ieee_overflow 0
		.amdhsa_exception_fp_ieee_underflow 0
		.amdhsa_exception_fp_ieee_inexact 0
		.amdhsa_exception_int_div_zero 0
	.end_amdhsa_kernel
	.section	.text._ZN9rocsolver6v33100L24stedc_mergeRotate_kernelIdEEviiPT_iilS3_Pi,"axG",@progbits,_ZN9rocsolver6v33100L24stedc_mergeRotate_kernelIdEEviiPT_iilS3_Pi,comdat
.Lfunc_end42:
	.size	_ZN9rocsolver6v33100L24stedc_mergeRotate_kernelIdEEviiPT_iilS3_Pi, .Lfunc_end42-_ZN9rocsolver6v33100L24stedc_mergeRotate_kernelIdEEviiPT_iilS3_Pi
                                        ; -- End function
	.set _ZN9rocsolver6v33100L24stedc_mergeRotate_kernelIdEEviiPT_iilS3_Pi.num_vgpr, 128
	.set _ZN9rocsolver6v33100L24stedc_mergeRotate_kernelIdEEviiPT_iilS3_Pi.num_agpr, 0
	.set _ZN9rocsolver6v33100L24stedc_mergeRotate_kernelIdEEviiPT_iilS3_Pi.numbered_sgpr, 64
	.set _ZN9rocsolver6v33100L24stedc_mergeRotate_kernelIdEEviiPT_iilS3_Pi.num_named_barrier, 0
	.set _ZN9rocsolver6v33100L24stedc_mergeRotate_kernelIdEEviiPT_iilS3_Pi.private_seg_size, 296
	.set _ZN9rocsolver6v33100L24stedc_mergeRotate_kernelIdEEviiPT_iilS3_Pi.uses_vcc, 1
	.set _ZN9rocsolver6v33100L24stedc_mergeRotate_kernelIdEEviiPT_iilS3_Pi.uses_flat_scratch, 0
	.set _ZN9rocsolver6v33100L24stedc_mergeRotate_kernelIdEEviiPT_iilS3_Pi.has_dyn_sized_stack, 0
	.set _ZN9rocsolver6v33100L24stedc_mergeRotate_kernelIdEEviiPT_iilS3_Pi.has_recursion, 0
	.set _ZN9rocsolver6v33100L24stedc_mergeRotate_kernelIdEEviiPT_iilS3_Pi.has_indirect_call, 0
	.section	.AMDGPU.csdata,"",@progbits
; Kernel info:
; codeLenInByte = 6456
; TotalNumSgprs: 68
; NumVgprs: 128
; ScratchSize: 296
; MemoryBound: 0
; FloatMode: 240
; IeeeMode: 1
; LDSByteSize: 0 bytes/workgroup (compile time only)
; SGPRBlocks: 8
; VGPRBlocks: 31
; NumSGPRsForWavesPerEU: 68
; NumVGPRsForWavesPerEU: 128
; Occupancy: 2
; WaveLimiterHint : 1
; COMPUTE_PGM_RSRC2:SCRATCH_EN: 1
; COMPUTE_PGM_RSRC2:USER_SGPR: 6
; COMPUTE_PGM_RSRC2:TRAP_HANDLER: 0
; COMPUTE_PGM_RSRC2:TGID_X_EN: 1
; COMPUTE_PGM_RSRC2:TGID_Y_EN: 1
; COMPUTE_PGM_RSRC2:TGID_Z_EN: 0
; COMPUTE_PGM_RSRC2:TIDIG_COMP_CNT: 0
	.section	.text._ZN9rocsolver6v33100L31stedc_mergeValues_SortDZ_kernelIdEEviiPT_lS3_Pi,"axG",@progbits,_ZN9rocsolver6v33100L31stedc_mergeValues_SortDZ_kernelIdEEviiPT_lS3_Pi,comdat
	.globl	_ZN9rocsolver6v33100L31stedc_mergeValues_SortDZ_kernelIdEEviiPT_lS3_Pi ; -- Begin function _ZN9rocsolver6v33100L31stedc_mergeValues_SortDZ_kernelIdEEviiPT_lS3_Pi
	.p2align	8
	.type	_ZN9rocsolver6v33100L31stedc_mergeValues_SortDZ_kernelIdEEviiPT_lS3_Pi,@function
_ZN9rocsolver6v33100L31stedc_mergeValues_SortDZ_kernelIdEEviiPT_lS3_Pi: ; @_ZN9rocsolver6v33100L31stedc_mergeValues_SortDZ_kernelIdEEviiPT_lS3_Pi
; %bb.0:
	s_load_dword s22, s[4:5], 0x4
	s_load_dwordx8 s[8:15], s[4:5], 0x8
	s_ashr_i32 s0, s7, 31
	s_mov_b32 s34, 0
	s_waitcnt lgkmcnt(0)
	s_ashr_i32 s23, s22, 31
	s_mul_hi_u32 s1, s10, s7
	s_mul_i32 s0, s10, s0
	s_add_i32 s0, s1, s0
	s_mul_i32 s1, s11, s7
	s_add_i32 s1, s0, s1
	s_mul_i32 s0, s10, s7
	s_lshl_b64 s[0:1], s[0:1], 3
	s_mul_i32 s7, s22, s7
	s_add_u32 s47, s8, s0
	s_mul_i32 s0, s7, 13
	s_addc_u32 s48, s9, s1
	s_ashr_i32 s1, s0, 31
	s_lshl_b64 s[0:1], s[0:1], 2
	s_add_u32 s2, s14, s0
	s_addc_u32 s3, s15, s1
	s_lshl_b32 s0, s22, 3
	s_ashr_i32 s1, s0, 31
	s_lshl_b64 s[0:1], s[0:1], 2
	s_add_u32 s50, s2, s0
	s_addc_u32 s51, s3, s1
	s_lshl_b64 s[0:1], s[22:23], 3
	s_add_u32 s39, s50, s0
	s_addc_u32 s40, s51, s1
	s_mul_i32 s3, s22, 0xffffffec
	s_mul_hi_i32 s2, s22, 0xffffffec
	s_add_u32 s10, s39, s3
	s_addc_u32 s11, s40, s2
	s_lshl_b64 s[28:29], s[22:23], 2
	s_add_u32 s43, s10, s28
	s_mul_i32 s8, s7, 10
	s_addc_u32 s44, s11, s29
	s_mul_i32 s2, s22, 7
	s_ashr_i32 s9, s8, 31
	s_ashr_i32 s3, s2, 31
	s_lshl_b64 s[8:9], s[8:9], 3
	s_add_u32 s8, s12, s8
	s_addc_u32 s9, s13, s9
	s_lshl_b64 s[2:3], s[2:3], 3
	s_add_u32 s33, s8, s2
	s_addc_u32 s38, s9, s3
	s_add_u32 s41, s33, s0
	s_addc_u32 s42, s38, s1
	;; [unrolled: 2-line block ×3, first 2 shown]
	s_ashr_i32 s7, s6, 31
	s_lshl_b64 s[24:25], s[6:7], 3
	s_add_u32 s0, s45, s24
	s_addc_u32 s1, s46, s25
	s_load_dwordx2 s[0:1], s[0:1], 0x0
	s_mov_b32 s2, 0xbff00000
	s_load_dword s12, s[4:5], 0x34
	s_waitcnt lgkmcnt(0)
	v_cmp_lt_f64_e64 s[0:1], s[0:1], 0
	s_and_b64 s[0:1], s[0:1], exec
	s_cselect_b32 s35, s2, 0x3ff00000
	s_add_u32 s0, s47, s24
	s_addc_u32 s1, s48, s25
	s_add_u32 s2, s8, s24
	s_load_dwordx2 s[26:27], s[0:1], 0x0
	s_addc_u32 s3, s9, s25
	s_lshl_b64 s[0:1], s[6:7], 2
	s_add_u32 s4, s10, s0
	s_addc_u32 s5, s11, s1
	s_add_u32 s8, s43, s0
	s_addc_u32 s9, s44, s1
	s_and_b32 s49, s12, 0xffff
	s_lshl_b32 s52, s49, 3
	v_cvt_f32_u32_e32 v3, s52
	v_mov_b32_e32 v1, s34
	v_mov_b32_e32 v2, s35
	s_waitcnt lgkmcnt(0)
	v_mul_f64 v[10:11], s[26:27], v[1:2]
	v_rcp_iflag_f32_e32 v1, v3
	s_load_dword s53, s[4:5], 0x0
	s_sub_i32 s4, 0, s52
	s_load_dwordx2 s[30:31], s[2:3], 0x0
	s_load_dword s7, s[8:9], 0x0
	v_mul_f32_e32 v1, 0x4f7ffffe, v1
	v_cvt_u32_f32_e32 v1, v1
	s_waitcnt lgkmcnt(0)
	s_add_i32 s2, s53, -1
	s_ashr_i32 s3, s2, 31
	s_abs_i32 s2, s2
	v_readfirstlane_b32 s5, v1
	s_mul_i32 s4, s4, s5
	s_mul_hi_u32 s4, s5, s4
	s_add_i32 s5, s5, s4
	s_mul_hi_u32 s4, s2, s5
	s_mul_i32 s5, s4, s52
	s_sub_i32 s2, s2, s5
	s_add_i32 s5, s4, 1
	s_sub_i32 s8, s2, s52
	s_cmp_ge_u32 s2, s52
	s_cselect_b32 s4, s5, s4
	s_cselect_b32 s2, s8, s2
	s_add_i32 s5, s4, 1
	s_cmp_ge_u32 s2, s52
	s_cselect_b32 s2, s5, s4
	s_xor_b32 s2, s2, s3
	s_sub_i32 s2, s2, s3
	s_cmp_lt_i32 s2, 0
	s_cbranch_scc1 .LBB43_35
; %bb.1:
	s_add_u32 s0, s50, s0
	s_addc_u32 s1, s51, s1
	s_load_dword s54, s[0:1], 0x0
	s_lshl_b32 s0, s49, 1
	s_add_i32 s56, s7, s0
	s_mul_i32 s0, s49, 3
	s_add_i32 s57, s7, s0
	s_lshl_b32 s0, s49, 2
	s_add_i32 s58, s7, s0
	s_mul_i32 s0, s49, 5
	v_mov_b32_e32 v1, 0
	s_add_i32 s59, s7, s0
	s_mul_i32 s0, s49, 6
	v_mov_b32_e32 v2, v1
	v_mov_b32_e32 v3, v1
	;; [unrolled: 1-line block ×7, first 2 shown]
	s_add_i32 s60, s7, s0
	s_mul_i32 s0, s49, 7
	v_mov_b32_e32 v9, v8
	s_add_i32 s55, s2, 1
	s_add_i32 s61, s7, s0
	;; [unrolled: 1-line block ×3, first 2 shown]
	v_mov_b32_e32 v12, v1
	v_mov_b32_e32 v13, v1
	;; [unrolled: 1-line block ×27, first 2 shown]
	s_branch .LBB43_3
.LBB43_2:                               ;   in Loop: Header=BB43_3 Depth=1
	s_or_b64 exec, exec, s[8:9]
	s_add_i32 s55, s55, -1
	s_cmp_eq_u32 s55, 0
	v_add_u32_e32 v45, s52, v45
	s_cbranch_scc1 .LBB43_36
.LBB43_3:                               ; =>This Inner Loop Header: Depth=1
	v_cmp_gt_i32_e64 s[14:15], s53, v45
	v_add_u32_e32 v42, s7, v45
	s_and_saveexec_b64 s[0:1], s[14:15]
	s_cbranch_execz .LBB43_5
; %bb.4:                                ;   in Loop: Header=BB43_3 Depth=1
	v_ashrrev_i32_e32 v43, 31, v42
	v_lshlrev_b64 v[12:13], 3, v[42:43]
	s_waitcnt vmcnt(0)
	v_mov_b32_e32 v2, s48
	v_add_co_u32_e32 v12, vcc, s47, v12
	v_addc_co_u32_e32 v13, vcc, v2, v13, vcc
	global_load_dwordx2 v[12:13], v[12:13], off
	v_lshlrev_b64 v[28:29], 2, v[42:43]
	v_mov_b32_e32 v2, s51
	v_add_co_u32_e32 v28, vcc, s50, v28
	v_addc_co_u32_e32 v29, vcc, v2, v29, vcc
	global_load_dword v2, v[28:29], off
	s_waitcnt vmcnt(1)
	v_mul_f64 v[12:13], s[34:35], v[12:13]
.LBB43_5:                               ;   in Loop: Header=BB43_3 Depth=1
	s_or_b64 exec, exec, s[0:1]
	v_add_u32_e32 v28, s49, v45
	v_cmp_gt_i32_e64 s[12:13], s53, v28
	v_add_u32_e32 v40, s62, v45
	s_and_saveexec_b64 s[0:1], s[12:13]
	s_cbranch_execz .LBB43_7
; %bb.6:                                ;   in Loop: Header=BB43_3 Depth=1
	v_ashrrev_i32_e32 v41, 31, v40
	v_lshlrev_b64 v[14:15], 3, v[40:41]
	s_waitcnt vmcnt(0)
	v_mov_b32_e32 v3, s48
	v_add_co_u32_e32 v14, vcc, s47, v14
	v_addc_co_u32_e32 v15, vcc, v3, v15, vcc
	global_load_dwordx2 v[14:15], v[14:15], off
	v_lshlrev_b64 v[29:30], 2, v[40:41]
	v_mov_b32_e32 v3, s51
	v_add_co_u32_e32 v29, vcc, s50, v29
	v_addc_co_u32_e32 v30, vcc, v3, v30, vcc
	global_load_dword v3, v[29:30], off
	s_waitcnt vmcnt(1)
	v_mul_f64 v[14:15], s[34:35], v[14:15]
.LBB43_7:                               ;   in Loop: Header=BB43_3 Depth=1
	s_or_b64 exec, exec, s[0:1]
	v_add_u32_e32 v28, s49, v28
	;; [unrolled: 22-line block ×3, first 2 shown]
	v_cmp_gt_i32_e64 s[8:9], s53, v28
	v_add_u32_e32 v36, s57, v45
	s_and_saveexec_b64 s[0:1], s[8:9]
	s_cbranch_execz .LBB43_11
; %bb.10:                               ;   in Loop: Header=BB43_3 Depth=1
	v_ashrrev_i32_e32 v37, 31, v36
	v_lshlrev_b64 v[18:19], 3, v[36:37]
	s_waitcnt vmcnt(0)
	v_mov_b32_e32 v5, s48
	v_add_co_u32_e32 v18, vcc, s47, v18
	v_addc_co_u32_e32 v19, vcc, v5, v19, vcc
	global_load_dwordx2 v[18:19], v[18:19], off
	v_lshlrev_b64 v[29:30], 2, v[36:37]
	v_mov_b32_e32 v5, s51
	v_add_co_u32_e32 v29, vcc, s50, v29
	v_addc_co_u32_e32 v30, vcc, v5, v30, vcc
	global_load_dword v5, v[29:30], off
	s_waitcnt vmcnt(1)
	v_mul_f64 v[18:19], s[34:35], v[18:19]
.LBB43_11:                              ;   in Loop: Header=BB43_3 Depth=1
	s_or_b64 exec, exec, s[0:1]
	v_add_u32_e32 v28, s49, v28
	v_cmp_gt_i32_e64 s[4:5], s53, v28
	v_add_u32_e32 v34, s58, v45
	s_and_saveexec_b64 s[0:1], s[4:5]
	s_cbranch_execz .LBB43_13
; %bb.12:                               ;   in Loop: Header=BB43_3 Depth=1
	v_ashrrev_i32_e32 v35, 31, v34
	v_lshlrev_b64 v[20:21], 3, v[34:35]
	s_waitcnt vmcnt(0)
	v_mov_b32_e32 v6, s48
	v_add_co_u32_e32 v20, vcc, s47, v20
	v_addc_co_u32_e32 v21, vcc, v6, v21, vcc
	global_load_dwordx2 v[20:21], v[20:21], off
	v_lshlrev_b64 v[29:30], 2, v[34:35]
	v_mov_b32_e32 v6, s51
	v_add_co_u32_e32 v29, vcc, s50, v29
	v_addc_co_u32_e32 v30, vcc, v6, v30, vcc
	global_load_dword v6, v[29:30], off
	s_waitcnt vmcnt(1)
	v_mul_f64 v[20:21], s[34:35], v[20:21]
.LBB43_13:                              ;   in Loop: Header=BB43_3 Depth=1
	s_or_b64 exec, exec, s[0:1]
	v_add_u32_e32 v28, s49, v28
	;; [unrolled: 22-line block ×4, first 2 shown]
	v_cmp_gt_i32_e32 vcc, s53, v28
	v_add_u32_e32 v28, s61, v45
	s_and_saveexec_b64 s[18:19], vcc
	s_cbranch_execnz .LBB43_26
; %bb.18:                               ;   in Loop: Header=BB43_3 Depth=1
	s_or_b64 exec, exec, s[18:19]
	s_and_saveexec_b64 s[36:37], s[14:15]
	s_cbranch_execnz .LBB43_27
.LBB43_19:                              ;   in Loop: Header=BB43_3 Depth=1
	s_or_b64 exec, exec, s[36:37]
	s_and_saveexec_b64 s[20:21], s[12:13]
	s_cbranch_execnz .LBB43_28
.LBB43_20:                              ;   in Loop: Header=BB43_3 Depth=1
	s_or_b64 exec, exec, s[20:21]
	s_and_saveexec_b64 s[18:19], s[10:11]
	s_cbranch_execnz .LBB43_29
.LBB43_21:                              ;   in Loop: Header=BB43_3 Depth=1
	s_or_b64 exec, exec, s[18:19]
	s_and_saveexec_b64 s[16:17], s[8:9]
	s_cbranch_execnz .LBB43_30
.LBB43_22:                              ;   in Loop: Header=BB43_3 Depth=1
	s_or_b64 exec, exec, s[16:17]
	s_and_saveexec_b64 s[14:15], s[4:5]
	s_cbranch_execnz .LBB43_31
.LBB43_23:                              ;   in Loop: Header=BB43_3 Depth=1
	s_or_b64 exec, exec, s[14:15]
	s_and_saveexec_b64 s[12:13], s[2:3]
	s_cbranch_execnz .LBB43_32
.LBB43_24:                              ;   in Loop: Header=BB43_3 Depth=1
	s_or_b64 exec, exec, s[12:13]
	s_and_saveexec_b64 s[10:11], s[0:1]
	s_cbranch_execnz .LBB43_33
.LBB43_25:                              ;   in Loop: Header=BB43_3 Depth=1
	s_or_b64 exec, exec, s[10:11]
	s_and_saveexec_b64 s[8:9], vcc
	s_cbranch_execz .LBB43_2
	s_branch .LBB43_34
.LBB43_26:                              ;   in Loop: Header=BB43_3 Depth=1
	v_ashrrev_i32_e32 v29, 31, v28
	v_lshlrev_b64 v[26:27], 3, v[28:29]
	s_waitcnt vmcnt(0)
	v_mov_b32_e32 v9, s48
	v_add_co_u32_e64 v26, s[16:17], s47, v26
	v_addc_co_u32_e64 v27, s[16:17], v9, v27, s[16:17]
	global_load_dwordx2 v[26:27], v[26:27], off
	v_lshlrev_b64 v[48:49], 2, v[28:29]
	v_mov_b32_e32 v9, s51
	v_add_co_u32_e64 v48, s[16:17], s50, v48
	v_addc_co_u32_e64 v49, s[16:17], v9, v49, s[16:17]
	global_load_dword v9, v[48:49], off
	s_waitcnt vmcnt(1)
	v_mul_f64 v[26:27], s[34:35], v[26:27]
	s_or_b64 exec, exec, s[18:19]
	s_and_saveexec_b64 s[36:37], s[14:15]
	s_cbranch_execz .LBB43_19
.LBB43_27:                              ;   in Loop: Header=BB43_3 Depth=1
	v_cmp_u_f64_e64 s[16:17], v[12:13], v[12:13]
	v_cmp_lt_f64_e64 s[14:15], v[12:13], v[10:11]
	s_waitcnt vmcnt(0)
	v_cmp_lt_i32_e64 s[18:19], 0, v2
	v_addc_co_u32_e64 v44, s[18:19], 0, v44, s[18:19]
	s_waitcnt lgkmcnt(0)
	v_cmp_eq_u32_e64 s[20:21], s54, v2
	v_cmp_lt_i32_e64 s[18:19], s54, v2
	v_addc_co_u32_e64 v1, s[16:17], 0, v1, s[16:17]
	v_cmp_eq_f64_e64 s[16:17], v[12:13], v[10:11]
	s_and_b64 s[14:15], s[20:21], s[14:15]
	s_or_b64 s[14:15], s[18:19], s[14:15]
	v_addc_co_u32_e64 v46, s[14:15], 0, v46, s[14:15]
	v_cmp_gt_i32_e64 s[14:15], s6, v42
	s_and_b64 s[16:17], s[20:21], s[16:17]
	s_and_b64 s[14:15], s[16:17], s[14:15]
	v_addc_co_u32_e64 v47, s[14:15], 0, v47, s[14:15]
	s_or_b64 exec, exec, s[36:37]
	s_and_saveexec_b64 s[20:21], s[12:13]
	s_cbranch_execz .LBB43_20
.LBB43_28:                              ;   in Loop: Header=BB43_3 Depth=1
	v_cmp_u_f64_e64 s[14:15], v[14:15], v[14:15]
	v_cmp_lt_f64_e64 s[12:13], v[14:15], v[10:11]
	s_waitcnt vmcnt(0)
	v_cmp_lt_i32_e64 s[16:17], 0, v3
	v_addc_co_u32_e64 v44, s[16:17], 0, v44, s[16:17]
	s_waitcnt lgkmcnt(0)
	v_cmp_eq_u32_e64 s[18:19], s54, v3
	v_cmp_lt_i32_e64 s[16:17], s54, v3
	v_addc_co_u32_e64 v1, s[14:15], 0, v1, s[14:15]
	v_cmp_eq_f64_e64 s[14:15], v[14:15], v[10:11]
	s_and_b64 s[12:13], s[18:19], s[12:13]
	s_or_b64 s[12:13], s[16:17], s[12:13]
	v_addc_co_u32_e64 v46, s[12:13], 0, v46, s[12:13]
	v_cmp_gt_i32_e64 s[12:13], s6, v40
	s_and_b64 s[14:15], s[18:19], s[14:15]
	s_and_b64 s[12:13], s[14:15], s[12:13]
	v_addc_co_u32_e64 v47, s[12:13], 0, v47, s[12:13]
	s_or_b64 exec, exec, s[20:21]
	s_and_saveexec_b64 s[18:19], s[10:11]
	s_cbranch_execz .LBB43_21
.LBB43_29:                              ;   in Loop: Header=BB43_3 Depth=1
	v_cmp_u_f64_e64 s[12:13], v[16:17], v[16:17]
	v_cmp_lt_f64_e64 s[10:11], v[16:17], v[10:11]
	s_waitcnt vmcnt(0)
	v_cmp_lt_i32_e64 s[14:15], 0, v4
	v_addc_co_u32_e64 v44, s[14:15], 0, v44, s[14:15]
	s_waitcnt lgkmcnt(0)
	v_cmp_eq_u32_e64 s[16:17], s54, v4
	v_cmp_lt_i32_e64 s[14:15], s54, v4
	v_addc_co_u32_e64 v1, s[12:13], 0, v1, s[12:13]
	v_cmp_eq_f64_e64 s[12:13], v[16:17], v[10:11]
	s_and_b64 s[10:11], s[16:17], s[10:11]
	s_or_b64 s[10:11], s[14:15], s[10:11]
	v_addc_co_u32_e64 v46, s[10:11], 0, v46, s[10:11]
	v_cmp_gt_i32_e64 s[10:11], s6, v38
	s_and_b64 s[12:13], s[16:17], s[12:13]
	s_and_b64 s[10:11], s[12:13], s[10:11]
	v_addc_co_u32_e64 v47, s[10:11], 0, v47, s[10:11]
	s_or_b64 exec, exec, s[18:19]
	s_and_saveexec_b64 s[16:17], s[8:9]
	s_cbranch_execz .LBB43_22
.LBB43_30:                              ;   in Loop: Header=BB43_3 Depth=1
	v_cmp_u_f64_e64 s[10:11], v[18:19], v[18:19]
	v_cmp_lt_f64_e64 s[8:9], v[18:19], v[10:11]
	s_waitcnt vmcnt(0)
	v_cmp_lt_i32_e64 s[12:13], 0, v5
	v_addc_co_u32_e64 v44, s[12:13], 0, v44, s[12:13]
	s_waitcnt lgkmcnt(0)
	v_cmp_eq_u32_e64 s[14:15], s54, v5
	v_cmp_lt_i32_e64 s[12:13], s54, v5
	v_addc_co_u32_e64 v1, s[10:11], 0, v1, s[10:11]
	v_cmp_eq_f64_e64 s[10:11], v[18:19], v[10:11]
	s_and_b64 s[8:9], s[14:15], s[8:9]
	s_or_b64 s[8:9], s[12:13], s[8:9]
	v_addc_co_u32_e64 v46, s[8:9], 0, v46, s[8:9]
	v_cmp_gt_i32_e64 s[8:9], s6, v36
	s_and_b64 s[10:11], s[14:15], s[10:11]
	s_and_b64 s[8:9], s[10:11], s[8:9]
	v_addc_co_u32_e64 v47, s[8:9], 0, v47, s[8:9]
	s_or_b64 exec, exec, s[16:17]
	s_and_saveexec_b64 s[14:15], s[4:5]
	s_cbranch_execz .LBB43_23
.LBB43_31:                              ;   in Loop: Header=BB43_3 Depth=1
	v_cmp_u_f64_e64 s[8:9], v[20:21], v[20:21]
	v_cmp_lt_f64_e64 s[4:5], v[20:21], v[10:11]
	s_waitcnt vmcnt(0)
	v_cmp_lt_i32_e64 s[10:11], 0, v6
	v_addc_co_u32_e64 v44, s[10:11], 0, v44, s[10:11]
	s_waitcnt lgkmcnt(0)
	v_cmp_eq_u32_e64 s[12:13], s54, v6
	v_cmp_lt_i32_e64 s[10:11], s54, v6
	v_addc_co_u32_e64 v1, s[8:9], 0, v1, s[8:9]
	v_cmp_eq_f64_e64 s[8:9], v[20:21], v[10:11]
	s_and_b64 s[4:5], s[12:13], s[4:5]
	s_or_b64 s[4:5], s[10:11], s[4:5]
	v_addc_co_u32_e64 v46, s[4:5], 0, v46, s[4:5]
	v_cmp_gt_i32_e64 s[4:5], s6, v34
	s_and_b64 s[8:9], s[12:13], s[8:9]
	s_and_b64 s[4:5], s[8:9], s[4:5]
	v_addc_co_u32_e64 v47, s[4:5], 0, v47, s[4:5]
	s_or_b64 exec, exec, s[14:15]
	s_and_saveexec_b64 s[12:13], s[2:3]
	s_cbranch_execz .LBB43_24
.LBB43_32:                              ;   in Loop: Header=BB43_3 Depth=1
	v_cmp_u_f64_e64 s[4:5], v[22:23], v[22:23]
	v_cmp_lt_f64_e64 s[2:3], v[22:23], v[10:11]
	s_waitcnt vmcnt(0)
	v_cmp_lt_i32_e64 s[8:9], 0, v7
	v_addc_co_u32_e64 v44, s[8:9], 0, v44, s[8:9]
	s_waitcnt lgkmcnt(0)
	v_cmp_eq_u32_e64 s[10:11], s54, v7
	v_cmp_lt_i32_e64 s[8:9], s54, v7
	v_addc_co_u32_e64 v1, s[4:5], 0, v1, s[4:5]
	v_cmp_eq_f64_e64 s[4:5], v[22:23], v[10:11]
	s_and_b64 s[2:3], s[10:11], s[2:3]
	s_or_b64 s[2:3], s[8:9], s[2:3]
	v_addc_co_u32_e64 v46, s[2:3], 0, v46, s[2:3]
	v_cmp_gt_i32_e64 s[2:3], s6, v32
	s_and_b64 s[4:5], s[10:11], s[4:5]
	s_and_b64 s[2:3], s[4:5], s[2:3]
	v_addc_co_u32_e64 v47, s[2:3], 0, v47, s[2:3]
	s_or_b64 exec, exec, s[12:13]
	s_and_saveexec_b64 s[10:11], s[0:1]
	s_cbranch_execz .LBB43_25
.LBB43_33:                              ;   in Loop: Header=BB43_3 Depth=1
	v_cmp_u_f64_e64 s[2:3], v[24:25], v[24:25]
	v_cmp_lt_f64_e64 s[0:1], v[24:25], v[10:11]
	s_waitcnt vmcnt(0)
	v_cmp_lt_i32_e64 s[4:5], 0, v8
	v_addc_co_u32_e64 v44, s[4:5], 0, v44, s[4:5]
	s_waitcnt lgkmcnt(0)
	v_cmp_eq_u32_e64 s[8:9], s54, v8
	v_cmp_lt_i32_e64 s[4:5], s54, v8
	v_addc_co_u32_e64 v1, s[2:3], 0, v1, s[2:3]
	v_cmp_eq_f64_e64 s[2:3], v[24:25], v[10:11]
	s_and_b64 s[0:1], s[8:9], s[0:1]
	s_or_b64 s[0:1], s[4:5], s[0:1]
	v_addc_co_u32_e64 v46, s[0:1], 0, v46, s[0:1]
	v_cmp_gt_i32_e64 s[0:1], s6, v30
	s_and_b64 s[2:3], s[8:9], s[2:3]
	s_and_b64 s[0:1], s[2:3], s[0:1]
	v_addc_co_u32_e64 v47, s[0:1], 0, v47, s[0:1]
	s_or_b64 exec, exec, s[10:11]
	s_and_saveexec_b64 s[8:9], vcc
	s_cbranch_execz .LBB43_2
.LBB43_34:                              ;   in Loop: Header=BB43_3 Depth=1
	v_cmp_u_f64_e64 s[0:1], v[26:27], v[26:27]
	v_cmp_lt_f64_e32 vcc, v[26:27], v[10:11]
	s_waitcnt vmcnt(0)
	v_cmp_lt_i32_e64 s[2:3], 0, v9
	v_addc_co_u32_e64 v44, s[2:3], 0, v44, s[2:3]
	s_waitcnt lgkmcnt(0)
	v_cmp_eq_u32_e64 s[4:5], s54, v9
	v_cmp_lt_i32_e64 s[2:3], s54, v9
	v_addc_co_u32_e64 v1, s[0:1], 0, v1, s[0:1]
	v_cmp_eq_f64_e64 s[0:1], v[26:27], v[10:11]
	s_and_b64 s[10:11], s[4:5], vcc
	s_or_b64 vcc, s[2:3], s[10:11]
	v_addc_co_u32_e32 v46, vcc, 0, v46, vcc
	v_cmp_gt_i32_e32 vcc, s6, v28
	s_and_b64 s[0:1], s[4:5], s[0:1]
	s_and_b64 vcc, s[0:1], vcc
	v_addc_co_u32_e32 v47, vcc, 0, v47, vcc
	s_branch .LBB43_2
.LBB43_35:
	s_mov_b64 s[0:1], -1
	v_mov_b32_e32 v2, 0
	v_mov_b32_e32 v44, 0
	s_branch .LBB43_37
.LBB43_36:
	s_waitcnt vmcnt(0)
	v_add_u32_e32 v2, v46, v47
	v_cmp_eq_u32_e64 s[0:1], 0, v1
.LBB43_37:
	v_lshlrev_b32_e32 v1, 2, v0
	s_cmp_lt_u32 s49, 2
	ds_write2st64_b32 v1, v44, v2 offset1:8
	s_waitcnt lgkmcnt(0)
	s_barrier
	s_cbranch_scc1 .LBB43_42
; %bb.38:
	v_or_b32_e32 v3, 0x800, v1
	s_lshr_b32 s4, s49, 1
	v_cmp_gt_u32_e32 vcc, s4, v0
	s_and_saveexec_b64 s[2:3], vcc
	s_cbranch_execz .LBB43_40
.LBB43_39:
	s_lshl_b32 s5, s4, 2
	v_add_u32_e32 v4, s5, v3
	v_add_u32_e32 v5, s5, v1
	ds_read_b32 v4, v4
	ds_read_b32 v5, v5
	s_waitcnt lgkmcnt(1)
	v_add_u32_e32 v2, v4, v2
	s_waitcnt lgkmcnt(0)
	v_add_u32_e32 v44, v5, v44
	ds_write_b32 v3, v2
	ds_write_b32 v1, v44
.LBB43_40:                              ; =>This Inner Loop Header: Depth=1
	s_or_b64 exec, exec, s[2:3]
	s_cmp_gt_u32 s49, 3
	s_waitcnt lgkmcnt(0)
	s_barrier
	s_cbranch_scc0 .LBB43_42
; %bb.41:                               ;   in Loop: Header=BB43_40 Depth=1
	s_mov_b32 s49, s4
	s_lshr_b32 s4, s49, 1
	v_cmp_gt_u32_e32 vcc, s4, v0
	s_and_saveexec_b64 s[2:3], vcc
	s_cbranch_execnz .LBB43_39
	s_branch .LBB43_40
.LBB43_42:
	s_xor_b64 s[0:1], s[0:1], -1
	v_cmp_eq_u32_e32 vcc, 0, v0
	s_and_saveexec_b64 s[2:3], vcc
	s_cbranch_execz .LBB43_44
; %bb.43:
	v_add_u32_e32 v0, s7, v2
	v_ashrrev_i32_e32 v1, 31, v0
	s_add_u32 s8, s43, s28
	v_lshlrev_b64 v[2:3], 2, v[0:1]
	s_addc_u32 s9, s44, s29
	v_mov_b32_e32 v5, s9
	v_add_co_u32_e32 v4, vcc, s8, v2
	v_addc_co_u32_e32 v5, vcc, v5, v3, vcc
	global_store_dword v[4:5], v44, off
	v_mov_b32_e32 v4, s40
	v_add_co_u32_e32 v2, vcc, s39, v2
	v_lshlrev_b64 v[0:1], 3, v[0:1]
	s_lshl_b64 s[4:5], s[22:23], 6
	v_addc_co_u32_e32 v3, vcc, v4, v3, vcc
	v_mov_b32_e32 v4, s6
	s_sub_u32 s4, 0, s4
	global_store_dword v[2:3], v4, off
	v_mov_b32_e32 v3, s38
	v_add_co_u32_e32 v2, vcc, s33, v0
	s_subb_u32 s5, 0, s5
	v_addc_co_u32_e32 v3, vcc, v3, v1, vcc
	s_add_u32 s4, s45, s4
	global_store_dwordx2 v[2:3], v[10:11], off
	v_mov_b32_e32 v3, s42
	v_add_co_u32_e32 v2, vcc, s41, v0
	v_mov_b32_e32 v4, s30
	s_addc_u32 s5, s46, s5
	v_addc_co_u32_e32 v3, vcc, v3, v1, vcc
	v_mov_b32_e32 v5, s31
	global_store_dwordx2 v[2:3], v[4:5], off
	v_mov_b32_e32 v2, s5
	v_add_co_u32_e32 v0, vcc, s4, v0
	v_addc_co_u32_e32 v1, vcc, v2, v1, vcc
	v_mov_b32_e32 v2, s26
	v_mov_b32_e32 v3, s27
	global_store_dwordx2 v[0:1], v[2:3], off
.LBB43_44:
	s_or_b64 exec, exec, s[2:3]
	s_waitcnt vmcnt(0)
	s_barrier
	s_and_saveexec_b64 s[2:3], s[0:1]
	s_cbranch_execz .LBB43_46
; %bb.45:
	s_add_u32 s0, s33, s24
	s_addc_u32 s1, s38, s25
	v_mov_b32_e32 v0, 0
	v_mov_b32_e32 v1, 0x7ff80000
	global_store_dwordx2 v0, v[0:1], s[0:1]
.LBB43_46:
	s_endpgm
	.section	.rodata,"a",@progbits
	.p2align	6, 0x0
	.amdhsa_kernel _ZN9rocsolver6v33100L31stedc_mergeValues_SortDZ_kernelIdEEviiPT_lS3_Pi
		.amdhsa_group_segment_fixed_size 4096
		.amdhsa_private_segment_fixed_size 0
		.amdhsa_kernarg_size 296
		.amdhsa_user_sgpr_count 6
		.amdhsa_user_sgpr_private_segment_buffer 1
		.amdhsa_user_sgpr_dispatch_ptr 0
		.amdhsa_user_sgpr_queue_ptr 0
		.amdhsa_user_sgpr_kernarg_segment_ptr 1
		.amdhsa_user_sgpr_dispatch_id 0
		.amdhsa_user_sgpr_flat_scratch_init 0
		.amdhsa_user_sgpr_private_segment_size 0
		.amdhsa_uses_dynamic_stack 0
		.amdhsa_system_sgpr_private_segment_wavefront_offset 0
		.amdhsa_system_sgpr_workgroup_id_x 1
		.amdhsa_system_sgpr_workgroup_id_y 1
		.amdhsa_system_sgpr_workgroup_id_z 0
		.amdhsa_system_sgpr_workgroup_info 0
		.amdhsa_system_vgpr_workitem_id 0
		.amdhsa_next_free_vgpr 50
		.amdhsa_next_free_sgpr 63
		.amdhsa_reserve_vcc 1
		.amdhsa_reserve_flat_scratch 0
		.amdhsa_float_round_mode_32 0
		.amdhsa_float_round_mode_16_64 0
		.amdhsa_float_denorm_mode_32 3
		.amdhsa_float_denorm_mode_16_64 3
		.amdhsa_dx10_clamp 1
		.amdhsa_ieee_mode 1
		.amdhsa_fp16_overflow 0
		.amdhsa_exception_fp_ieee_invalid_op 0
		.amdhsa_exception_fp_denorm_src 0
		.amdhsa_exception_fp_ieee_div_zero 0
		.amdhsa_exception_fp_ieee_overflow 0
		.amdhsa_exception_fp_ieee_underflow 0
		.amdhsa_exception_fp_ieee_inexact 0
		.amdhsa_exception_int_div_zero 0
	.end_amdhsa_kernel
	.section	.text._ZN9rocsolver6v33100L31stedc_mergeValues_SortDZ_kernelIdEEviiPT_lS3_Pi,"axG",@progbits,_ZN9rocsolver6v33100L31stedc_mergeValues_SortDZ_kernelIdEEviiPT_lS3_Pi,comdat
.Lfunc_end43:
	.size	_ZN9rocsolver6v33100L31stedc_mergeValues_SortDZ_kernelIdEEviiPT_lS3_Pi, .Lfunc_end43-_ZN9rocsolver6v33100L31stedc_mergeValues_SortDZ_kernelIdEEviiPT_lS3_Pi
                                        ; -- End function
	.set _ZN9rocsolver6v33100L31stedc_mergeValues_SortDZ_kernelIdEEviiPT_lS3_Pi.num_vgpr, 50
	.set _ZN9rocsolver6v33100L31stedc_mergeValues_SortDZ_kernelIdEEviiPT_lS3_Pi.num_agpr, 0
	.set _ZN9rocsolver6v33100L31stedc_mergeValues_SortDZ_kernelIdEEviiPT_lS3_Pi.numbered_sgpr, 63
	.set _ZN9rocsolver6v33100L31stedc_mergeValues_SortDZ_kernelIdEEviiPT_lS3_Pi.num_named_barrier, 0
	.set _ZN9rocsolver6v33100L31stedc_mergeValues_SortDZ_kernelIdEEviiPT_lS3_Pi.private_seg_size, 0
	.set _ZN9rocsolver6v33100L31stedc_mergeValues_SortDZ_kernelIdEEviiPT_lS3_Pi.uses_vcc, 1
	.set _ZN9rocsolver6v33100L31stedc_mergeValues_SortDZ_kernelIdEEviiPT_lS3_Pi.uses_flat_scratch, 0
	.set _ZN9rocsolver6v33100L31stedc_mergeValues_SortDZ_kernelIdEEviiPT_lS3_Pi.has_dyn_sized_stack, 0
	.set _ZN9rocsolver6v33100L31stedc_mergeValues_SortDZ_kernelIdEEviiPT_lS3_Pi.has_recursion, 0
	.set _ZN9rocsolver6v33100L31stedc_mergeValues_SortDZ_kernelIdEEviiPT_lS3_Pi.has_indirect_call, 0
	.section	.AMDGPU.csdata,"",@progbits
; Kernel info:
; codeLenInByte = 3080
; TotalNumSgprs: 67
; NumVgprs: 50
; ScratchSize: 0
; MemoryBound: 0
; FloatMode: 240
; IeeeMode: 1
; LDSByteSize: 4096 bytes/workgroup (compile time only)
; SGPRBlocks: 8
; VGPRBlocks: 12
; NumSGPRsForWavesPerEU: 67
; NumVGPRsForWavesPerEU: 50
; Occupancy: 4
; WaveLimiterHint : 1
; COMPUTE_PGM_RSRC2:SCRATCH_EN: 0
; COMPUTE_PGM_RSRC2:USER_SGPR: 6
; COMPUTE_PGM_RSRC2:TRAP_HANDLER: 0
; COMPUTE_PGM_RSRC2:TGID_X_EN: 1
; COMPUTE_PGM_RSRC2:TGID_Y_EN: 1
; COMPUTE_PGM_RSRC2:TGID_Z_EN: 0
; COMPUTE_PGM_RSRC2:TIDIG_COMP_CNT: 0
	.section	.text._ZN9rocsolver6v33100L30stedc_mergeValues_copyD_kernelIdEEviiPT_lS3_S3_Pi,"axG",@progbits,_ZN9rocsolver6v33100L30stedc_mergeValues_copyD_kernelIdEEviiPT_lS3_S3_Pi,comdat
	.globl	_ZN9rocsolver6v33100L30stedc_mergeValues_copyD_kernelIdEEviiPT_lS3_S3_Pi ; -- Begin function _ZN9rocsolver6v33100L30stedc_mergeValues_copyD_kernelIdEEviiPT_lS3_S3_Pi
	.p2align	8
	.type	_ZN9rocsolver6v33100L30stedc_mergeValues_copyD_kernelIdEEviiPT_lS3_S3_Pi,@function
_ZN9rocsolver6v33100L30stedc_mergeValues_copyD_kernelIdEEviiPT_lS3_S3_Pi: ; @_ZN9rocsolver6v33100L30stedc_mergeValues_copyD_kernelIdEEviiPT_lS3_S3_Pi
; %bb.0:
	s_load_dword s2, s[4:5], 0x4
	s_load_dwordx8 s[8:15], s[4:5], 0x8
	s_load_dwordx2 s[16:17], s[4:5], 0x28
	s_load_dword s20, s[4:5], 0x3c
	s_mov_b32 s0, s7
	s_waitcnt lgkmcnt(0)
	s_mul_i32 s1, s2, s7
	s_mul_i32 s4, s1, 13
	s_ashr_i32 s5, s4, 31
	s_lshl_b64 s[4:5], s[4:5], 2
	s_add_u32 s3, s16, s4
	s_mul_i32 s4, s2, 7
	s_addc_u32 s7, s17, s5
	s_ashr_i32 s5, s4, 31
	s_lshl_b64 s[16:17], s[4:5], 2
	s_add_u32 s18, s3, s16
	s_addc_u32 s19, s7, s17
	s_ashr_i32 s3, s2, 31
	s_lshl_b64 s[16:17], s[2:3], 2
	s_sub_u32 s3, 0, s16
	s_subb_u32 s7, 0, s17
	s_add_u32 s21, s18, s3
	s_mul_i32 s16, s1, 10
	s_addc_u32 s22, s19, s7
	s_ashr_i32 s17, s16, 31
	s_lshl_b64 s[16:17], s[16:17], 3
	s_add_u32 s3, s12, s16
	s_addc_u32 s7, s13, s17
	s_lshl_b64 s[4:5], s[4:5], 3
	s_add_u32 s3, s3, s4
	s_addc_u32 s16, s7, s5
	s_ashr_i32 s7, s6, 31
	s_lshl_b64 s[4:5], s[6:7], 2
	s_add_u32 s18, s18, s4
	s_addc_u32 s19, s19, s5
	s_add_u32 s4, s21, s4
	s_addc_u32 s5, s22, s5
	s_load_dword s7, s[18:19], 0x0
	s_load_dword s12, s[4:5], 0x0
	s_and_b32 s13, s20, 0xffff
	s_mul_i32 s4, s6, s13
	v_add_u32_e32 v1, s4, v0
	v_cmp_gt_i32_e32 vcc, s2, v1
	s_and_saveexec_b64 s[4:5], vcc
	s_cbranch_execz .LBB44_2
; %bb.1:
	s_mul_i32 s18, s2, 0xffffffd0
	v_ashrrev_i32_e32 v2, 31, v1
	s_mul_hi_i32 s17, s2, 0xffffffd0
	s_add_u32 s18, s3, s18
	v_lshlrev_b64 v[1:2], 3, v[1:2]
	s_addc_u32 s17, s16, s17
	v_mov_b32_e32 v4, s17
	v_add_co_u32_e32 v3, vcc, s18, v1
	v_addc_co_u32_e32 v4, vcc, v4, v2, vcc
	global_load_dwordx2 v[3:4], v[3:4], off
	s_ashr_i32 s17, s0, 31
	s_mul_hi_u32 s18, s10, s0
	s_mul_i32 s17, s10, s17
	s_add_i32 s17, s18, s17
	s_mul_i32 s11, s11, s0
	s_add_i32 s11, s17, s11
	s_mul_i32 s10, s10, s0
	s_lshl_b64 s[10:11], s[10:11], 3
	s_add_u32 s0, s8, s10
	s_addc_u32 s8, s9, s11
	v_mov_b32_e32 v5, s8
	v_add_co_u32_e32 v1, vcc, s0, v1
	v_addc_co_u32_e32 v2, vcc, v5, v2, vcc
	s_waitcnt vmcnt(0)
	global_store_dwordx2 v[1:2], v[3:4], off
.LBB44_2:
	s_or_b64 exec, exec, s[4:5]
	s_waitcnt lgkmcnt(0)
	v_cmp_gt_i32_e32 vcc, s7, v0
	s_and_saveexec_b64 s[4:5], vcc
	s_cbranch_execz .LBB44_5
; %bb.3:
	s_mul_i32 s1, s1, s2
	s_lshl_b32 s0, s1, 1
	s_ashr_i32 s1, s0, 31
	s_lshl_b64 s[0:1], s[0:1], 3
	s_add_u32 s4, s14, s0
	s_addc_u32 s5, s15, s1
	s_mul_i32 s0, s2, s2
	s_mov_b32 s1, 0
	s_lshl_b64 s[0:1], s[0:1], 3
	s_add_u32 s4, s4, s0
	s_addc_u32 s5, s5, s1
	s_mul_i32 s2, s2, s6
	s_mov_b64 s[0:1], 0
	v_mov_b32_e32 v1, s16
	v_mov_b32_e32 v2, s5
.LBB44_4:                               ; =>This Inner Loop Header: Depth=1
	v_add_u32_e32 v3, s12, v0
	v_ashrrev_i32_e32 v4, 31, v3
	v_lshlrev_b64 v[3:4], 3, v[3:4]
	v_add_u32_e32 v5, s2, v0
	v_add_co_u32_e32 v3, vcc, s3, v3
	v_addc_co_u32_e32 v4, vcc, v1, v4, vcc
	global_load_dwordx2 v[3:4], v[3:4], off
	v_ashrrev_i32_e32 v6, 31, v5
	v_add_u32_e32 v0, s13, v0
	v_lshlrev_b64 v[5:6], 3, v[5:6]
	v_cmp_le_i32_e32 vcc, s7, v0
	s_or_b64 s[0:1], vcc, s[0:1]
	v_add_co_u32_e32 v5, vcc, s4, v5
	v_addc_co_u32_e32 v6, vcc, v2, v6, vcc
	s_waitcnt vmcnt(0)
	global_store_dwordx2 v[5:6], v[3:4], off
	s_andn2_b64 exec, exec, s[0:1]
	s_cbranch_execnz .LBB44_4
.LBB44_5:
	s_endpgm
	.section	.rodata,"a",@progbits
	.p2align	6, 0x0
	.amdhsa_kernel _ZN9rocsolver6v33100L30stedc_mergeValues_copyD_kernelIdEEviiPT_lS3_S3_Pi
		.amdhsa_group_segment_fixed_size 0
		.amdhsa_private_segment_fixed_size 0
		.amdhsa_kernarg_size 304
		.amdhsa_user_sgpr_count 6
		.amdhsa_user_sgpr_private_segment_buffer 1
		.amdhsa_user_sgpr_dispatch_ptr 0
		.amdhsa_user_sgpr_queue_ptr 0
		.amdhsa_user_sgpr_kernarg_segment_ptr 1
		.amdhsa_user_sgpr_dispatch_id 0
		.amdhsa_user_sgpr_flat_scratch_init 0
		.amdhsa_user_sgpr_private_segment_size 0
		.amdhsa_uses_dynamic_stack 0
		.amdhsa_system_sgpr_private_segment_wavefront_offset 0
		.amdhsa_system_sgpr_workgroup_id_x 1
		.amdhsa_system_sgpr_workgroup_id_y 1
		.amdhsa_system_sgpr_workgroup_id_z 0
		.amdhsa_system_sgpr_workgroup_info 0
		.amdhsa_system_vgpr_workitem_id 0
		.amdhsa_next_free_vgpr 7
		.amdhsa_next_free_sgpr 23
		.amdhsa_reserve_vcc 1
		.amdhsa_reserve_flat_scratch 0
		.amdhsa_float_round_mode_32 0
		.amdhsa_float_round_mode_16_64 0
		.amdhsa_float_denorm_mode_32 3
		.amdhsa_float_denorm_mode_16_64 3
		.amdhsa_dx10_clamp 1
		.amdhsa_ieee_mode 1
		.amdhsa_fp16_overflow 0
		.amdhsa_exception_fp_ieee_invalid_op 0
		.amdhsa_exception_fp_denorm_src 0
		.amdhsa_exception_fp_ieee_div_zero 0
		.amdhsa_exception_fp_ieee_overflow 0
		.amdhsa_exception_fp_ieee_underflow 0
		.amdhsa_exception_fp_ieee_inexact 0
		.amdhsa_exception_int_div_zero 0
	.end_amdhsa_kernel
	.section	.text._ZN9rocsolver6v33100L30stedc_mergeValues_copyD_kernelIdEEviiPT_lS3_S3_Pi,"axG",@progbits,_ZN9rocsolver6v33100L30stedc_mergeValues_copyD_kernelIdEEviiPT_lS3_S3_Pi,comdat
.Lfunc_end44:
	.size	_ZN9rocsolver6v33100L30stedc_mergeValues_copyD_kernelIdEEviiPT_lS3_S3_Pi, .Lfunc_end44-_ZN9rocsolver6v33100L30stedc_mergeValues_copyD_kernelIdEEviiPT_lS3_S3_Pi
                                        ; -- End function
	.set _ZN9rocsolver6v33100L30stedc_mergeValues_copyD_kernelIdEEviiPT_lS3_S3_Pi.num_vgpr, 7
	.set _ZN9rocsolver6v33100L30stedc_mergeValues_copyD_kernelIdEEviiPT_lS3_S3_Pi.num_agpr, 0
	.set _ZN9rocsolver6v33100L30stedc_mergeValues_copyD_kernelIdEEviiPT_lS3_S3_Pi.numbered_sgpr, 23
	.set _ZN9rocsolver6v33100L30stedc_mergeValues_copyD_kernelIdEEviiPT_lS3_S3_Pi.num_named_barrier, 0
	.set _ZN9rocsolver6v33100L30stedc_mergeValues_copyD_kernelIdEEviiPT_lS3_S3_Pi.private_seg_size, 0
	.set _ZN9rocsolver6v33100L30stedc_mergeValues_copyD_kernelIdEEviiPT_lS3_S3_Pi.uses_vcc, 1
	.set _ZN9rocsolver6v33100L30stedc_mergeValues_copyD_kernelIdEEviiPT_lS3_S3_Pi.uses_flat_scratch, 0
	.set _ZN9rocsolver6v33100L30stedc_mergeValues_copyD_kernelIdEEviiPT_lS3_S3_Pi.has_dyn_sized_stack, 0
	.set _ZN9rocsolver6v33100L30stedc_mergeValues_copyD_kernelIdEEviiPT_lS3_S3_Pi.has_recursion, 0
	.set _ZN9rocsolver6v33100L30stedc_mergeValues_copyD_kernelIdEEviiPT_lS3_S3_Pi.has_indirect_call, 0
	.section	.AMDGPU.csdata,"",@progbits
; Kernel info:
; codeLenInByte = 500
; TotalNumSgprs: 27
; NumVgprs: 7
; ScratchSize: 0
; MemoryBound: 0
; FloatMode: 240
; IeeeMode: 1
; LDSByteSize: 0 bytes/workgroup (compile time only)
; SGPRBlocks: 3
; VGPRBlocks: 1
; NumSGPRsForWavesPerEU: 27
; NumVGPRsForWavesPerEU: 7
; Occupancy: 10
; WaveLimiterHint : 1
; COMPUTE_PGM_RSRC2:SCRATCH_EN: 0
; COMPUTE_PGM_RSRC2:USER_SGPR: 6
; COMPUTE_PGM_RSRC2:TRAP_HANDLER: 0
; COMPUTE_PGM_RSRC2:TGID_X_EN: 1
; COMPUTE_PGM_RSRC2:TGID_Y_EN: 1
; COMPUTE_PGM_RSRC2:TGID_Z_EN: 0
; COMPUTE_PGM_RSRC2:TIDIG_COMP_CNT: 0
	.section	.text._ZN9rocsolver6v33100L11stedc_copyCIdPdS2_EEviT0_iilT1_iil,"axG",@progbits,_ZN9rocsolver6v33100L11stedc_copyCIdPdS2_EEviT0_iilT1_iil,comdat
	.globl	_ZN9rocsolver6v33100L11stedc_copyCIdPdS2_EEviT0_iilT1_iil ; -- Begin function _ZN9rocsolver6v33100L11stedc_copyCIdPdS2_EEviT0_iilT1_iil
	.p2align	8
	.type	_ZN9rocsolver6v33100L11stedc_copyCIdPdS2_EEviT0_iilT1_iil,@function
_ZN9rocsolver6v33100L11stedc_copyCIdPdS2_EEviT0_iilT1_iil: ; @_ZN9rocsolver6v33100L11stedc_copyCIdPdS2_EEviT0_iilT1_iil
; %bb.0:
	s_load_dword s0, s[4:5], 0x44
	s_load_dword s37, s[4:5], 0x0
	s_waitcnt lgkmcnt(0)
	s_and_b32 s33, s0, 0xffff
	s_lshl_b32 s36, s33, 4
	v_cvt_f32_u32_e32 v1, s36
	s_sub_i32 s2, 0, s36
	s_add_i32 s0, s37, -1
	s_ashr_i32 s1, s0, 31
	v_rcp_iflag_f32_e32 v1, v1
	s_abs_i32 s0, s0
	v_mul_f32_e32 v1, 0x4f7ffffe, v1
	v_cvt_u32_f32_e32 v1, v1
	v_readfirstlane_b32 s3, v1
	s_mul_i32 s2, s2, s3
	s_mul_hi_u32 s2, s3, s2
	s_add_i32 s3, s3, s2
	s_mul_hi_u32 s2, s0, s3
	s_mul_i32 s3, s2, s36
	s_sub_i32 s0, s0, s3
	s_add_i32 s8, s2, 1
	s_sub_i32 s3, s0, s36
	s_cmp_ge_u32 s0, s36
	s_cselect_b32 s2, s8, s2
	s_cselect_b32 s0, s3, s0
	s_add_i32 s3, s2, 1
	s_cmp_ge_u32 s0, s36
	s_cselect_b32 s0, s3, s2
	s_xor_b32 s0, s0, s1
	s_sub_i32 s16, s0, s1
	s_cmp_lt_i32 s16, 0
	s_cbranch_scc1 .LBB45_67
; %bb.1:
	s_load_dwordx8 s[8:15], s[4:5], 0x8
	s_load_dwordx4 s[0:3], s[4:5], 0x28
	s_ashr_i32 s17, s7, 31
	v_mov_b32_e32 v2, 0
	s_mul_i32 s44, s33, 3
	s_waitcnt lgkmcnt(0)
	s_ashr_i32 s5, s10, 31
	s_mov_b32 s4, s10
	s_mul_hi_u32 s10, s12, s7
	s_mul_i32 s18, s12, s17
	s_add_i32 s10, s10, s18
	s_mul_i32 s13, s13, s7
	s_add_i32 s13, s10, s13
	s_mul_i32 s12, s12, s7
	s_lshl_b64 s[12:13], s[12:13], 3
	s_add_u32 s8, s8, s12
	s_addc_u32 s9, s9, s13
	s_lshl_b64 s[4:5], s[4:5], 3
	s_add_u32 s8, s8, s4
	s_addc_u32 s9, s9, s5
	s_ashr_i32 s5, s0, 31
	s_mov_b32 s4, s0
	s_mul_hi_u32 s0, s2, s7
	s_mul_i32 s10, s2, s17
	s_add_i32 s0, s0, s10
	s_mul_i32 s3, s3, s7
	s_add_i32 s3, s0, s3
	s_mul_i32 s2, s2, s7
	s_lshl_b64 s[2:3], s[2:3], 3
	s_add_u32 s0, s14, s2
	s_addc_u32 s7, s15, s3
	s_lshl_b64 s[2:3], s[4:5], 3
	s_add_u32 s4, s0, s2
	s_mul_i32 s2, s11, s6
	s_addc_u32 s5, s7, s3
	s_ashr_i32 s3, s2, 31
	s_lshl_b64 s[2:3], s[2:3], 3
	s_add_u32 s38, s8, s2
	s_mul_i32 s0, s1, s6
	s_addc_u32 s39, s9, s3
	s_ashr_i32 s1, s0, 31
	s_lshl_b64 s[0:1], s[0:1], 3
	s_add_u32 s40, s4, s0
	s_addc_u32 s41, s5, s1
	s_add_i32 s42, s16, 1
	s_lshl_b32 s43, s33, 1
	s_lshl_b32 s45, s33, 2
	s_mul_i32 s46, s33, 5
	s_mul_i32 s47, s33, 6
	;; [unrolled: 1-line block ×3, first 2 shown]
	s_lshl_b32 s49, s33, 3
	s_mul_i32 s50, s33, 9
	s_mul_i32 s51, s33, 10
	;; [unrolled: 1-line block ×7, first 2 shown]
	v_mov_b32_e32 v3, v2
	v_mov_b32_e32 v4, v2
	;; [unrolled: 1-line block ×31, first 2 shown]
	s_branch .LBB45_3
.LBB45_2:                               ;   in Loop: Header=BB45_3 Depth=1
	s_or_b64 exec, exec, s[0:1]
	s_add_i32 s42, s42, -1
	s_cmp_eq_u32 s42, 0
	v_add_u32_e32 v0, s36, v0
	s_cbranch_scc1 .LBB45_67
.LBB45_3:                               ; =>This Inner Loop Header: Depth=1
	v_cmp_gt_i32_e32 vcc, s37, v0
	v_ashrrev_i32_e32 v1, 31, v0
	s_and_saveexec_b64 s[2:3], vcc
	s_cbranch_execz .LBB45_5
; %bb.4:                                ;   in Loop: Header=BB45_3 Depth=1
	s_waitcnt vmcnt(0)
	v_lshlrev_b64 v[2:3], 3, v[0:1]
	v_mov_b32_e32 v34, s39
	v_add_co_u32_e64 v2, s[0:1], s38, v2
	v_addc_co_u32_e64 v3, s[0:1], v34, v3, s[0:1]
	global_load_dwordx2 v[2:3], v[2:3], off
.LBB45_5:                               ;   in Loop: Header=BB45_3 Depth=1
	s_or_b64 exec, exec, s[2:3]
	v_add_u32_e32 v34, s33, v0
	v_cmp_gt_i32_e64 s[0:1], s37, v34
	v_ashrrev_i32_e32 v35, 31, v34
	s_and_saveexec_b64 s[4:5], s[0:1]
	s_cbranch_execz .LBB45_7
; %bb.6:                                ;   in Loop: Header=BB45_3 Depth=1
	s_waitcnt vmcnt(0)
	v_lshlrev_b64 v[4:5], 3, v[34:35]
	v_mov_b32_e32 v36, s39
	v_add_co_u32_e64 v4, s[2:3], s38, v4
	v_addc_co_u32_e64 v5, s[2:3], v36, v5, s[2:3]
	global_load_dwordx2 v[4:5], v[4:5], off
.LBB45_7:                               ;   in Loop: Header=BB45_3 Depth=1
	s_or_b64 exec, exec, s[4:5]
	v_add_u32_e32 v36, s43, v0
	v_add_u32_e32 v39, s33, v34
	v_cmp_gt_i32_e64 s[2:3], s37, v39
	v_ashrrev_i32_e32 v37, 31, v36
	s_and_saveexec_b64 s[6:7], s[2:3]
	s_cbranch_execz .LBB45_9
; %bb.8:                                ;   in Loop: Header=BB45_3 Depth=1
	s_waitcnt vmcnt(0)
	v_lshlrev_b64 v[6:7], 3, v[36:37]
	v_mov_b32_e32 v38, s39
	v_add_co_u32_e64 v6, s[4:5], s38, v6
	v_addc_co_u32_e64 v7, s[4:5], v38, v7, s[4:5]
	global_load_dwordx2 v[6:7], v[6:7], off
.LBB45_9:                               ;   in Loop: Header=BB45_3 Depth=1
	s_or_b64 exec, exec, s[6:7]
	v_add_u32_e32 v38, s44, v0
	v_add_u32_e32 v41, s33, v39
	v_cmp_gt_i32_e64 s[4:5], s37, v41
	v_ashrrev_i32_e32 v39, 31, v38
	s_and_saveexec_b64 s[8:9], s[4:5]
	s_cbranch_execz .LBB45_11
; %bb.10:                               ;   in Loop: Header=BB45_3 Depth=1
	s_waitcnt vmcnt(0)
	v_lshlrev_b64 v[8:9], 3, v[38:39]
	v_mov_b32_e32 v40, s39
	v_add_co_u32_e64 v8, s[6:7], s38, v8
	v_addc_co_u32_e64 v9, s[6:7], v40, v9, s[6:7]
	global_load_dwordx2 v[8:9], v[8:9], off
.LBB45_11:                              ;   in Loop: Header=BB45_3 Depth=1
	s_or_b64 exec, exec, s[8:9]
	v_add_u32_e32 v40, s45, v0
	v_add_u32_e32 v43, s33, v41
	v_cmp_gt_i32_e64 s[6:7], s37, v43
	v_ashrrev_i32_e32 v41, 31, v40
	s_and_saveexec_b64 s[10:11], s[6:7]
	s_cbranch_execz .LBB45_13
; %bb.12:                               ;   in Loop: Header=BB45_3 Depth=1
	s_waitcnt vmcnt(0)
	v_lshlrev_b64 v[10:11], 3, v[40:41]
	v_mov_b32_e32 v42, s39
	v_add_co_u32_e64 v10, s[8:9], s38, v10
	v_addc_co_u32_e64 v11, s[8:9], v42, v11, s[8:9]
	global_load_dwordx2 v[10:11], v[10:11], off
.LBB45_13:                              ;   in Loop: Header=BB45_3 Depth=1
	;; [unrolled: 15-line block ×12, first 2 shown]
	s_or_b64 exec, exec, s[30:31]
	v_add_u32_e32 v62, s56, v0
	v_add_u32_e32 v63, s33, v63
	v_cmp_gt_i32_e64 s[28:29], s37, v63
	v_ashrrev_i32_e32 v63, 31, v62
	s_and_saveexec_b64 s[34:35], s[28:29]
	s_cbranch_execnz .LBB45_50
; %bb.34:                               ;   in Loop: Header=BB45_3 Depth=1
	s_or_b64 exec, exec, s[34:35]
	s_and_saveexec_b64 s[30:31], vcc
	s_cbranch_execnz .LBB45_51
.LBB45_35:                              ;   in Loop: Header=BB45_3 Depth=1
	s_or_b64 exec, exec, s[30:31]
	s_and_saveexec_b64 s[30:31], s[0:1]
	s_cbranch_execnz .LBB45_52
.LBB45_36:                              ;   in Loop: Header=BB45_3 Depth=1
	s_or_b64 exec, exec, s[30:31]
	s_and_saveexec_b64 s[0:1], s[2:3]
	s_cbranch_execnz .LBB45_53
.LBB45_37:                              ;   in Loop: Header=BB45_3 Depth=1
	s_or_b64 exec, exec, s[0:1]
	s_and_saveexec_b64 s[0:1], s[4:5]
	s_cbranch_execnz .LBB45_54
.LBB45_38:                              ;   in Loop: Header=BB45_3 Depth=1
	s_or_b64 exec, exec, s[0:1]
	s_and_saveexec_b64 s[0:1], s[6:7]
	s_cbranch_execnz .LBB45_55
.LBB45_39:                              ;   in Loop: Header=BB45_3 Depth=1
	s_or_b64 exec, exec, s[0:1]
	s_and_saveexec_b64 s[0:1], s[8:9]
	s_cbranch_execnz .LBB45_56
.LBB45_40:                              ;   in Loop: Header=BB45_3 Depth=1
	s_or_b64 exec, exec, s[0:1]
	s_and_saveexec_b64 s[0:1], s[10:11]
	s_cbranch_execnz .LBB45_57
.LBB45_41:                              ;   in Loop: Header=BB45_3 Depth=1
	s_or_b64 exec, exec, s[0:1]
	s_and_saveexec_b64 s[0:1], s[12:13]
	s_cbranch_execnz .LBB45_58
.LBB45_42:                              ;   in Loop: Header=BB45_3 Depth=1
	s_or_b64 exec, exec, s[0:1]
	s_and_saveexec_b64 s[0:1], s[14:15]
	s_cbranch_execnz .LBB45_59
.LBB45_43:                              ;   in Loop: Header=BB45_3 Depth=1
	s_or_b64 exec, exec, s[0:1]
	s_and_saveexec_b64 s[0:1], s[16:17]
	s_cbranch_execnz .LBB45_60
.LBB45_44:                              ;   in Loop: Header=BB45_3 Depth=1
	s_or_b64 exec, exec, s[0:1]
	s_and_saveexec_b64 s[0:1], s[18:19]
	s_cbranch_execnz .LBB45_61
.LBB45_45:                              ;   in Loop: Header=BB45_3 Depth=1
	s_or_b64 exec, exec, s[0:1]
	s_and_saveexec_b64 s[0:1], s[20:21]
	s_cbranch_execnz .LBB45_62
.LBB45_46:                              ;   in Loop: Header=BB45_3 Depth=1
	s_or_b64 exec, exec, s[0:1]
	s_and_saveexec_b64 s[0:1], s[22:23]
	s_cbranch_execnz .LBB45_63
.LBB45_47:                              ;   in Loop: Header=BB45_3 Depth=1
	s_or_b64 exec, exec, s[0:1]
	s_and_saveexec_b64 s[0:1], s[24:25]
	s_cbranch_execnz .LBB45_64
.LBB45_48:                              ;   in Loop: Header=BB45_3 Depth=1
	s_or_b64 exec, exec, s[0:1]
	s_and_saveexec_b64 s[0:1], s[26:27]
	s_cbranch_execnz .LBB45_65
.LBB45_49:                              ;   in Loop: Header=BB45_3 Depth=1
	s_or_b64 exec, exec, s[0:1]
	s_and_saveexec_b64 s[0:1], s[28:29]
	s_cbranch_execz .LBB45_2
	s_branch .LBB45_66
.LBB45_50:                              ;   in Loop: Header=BB45_3 Depth=1
	s_waitcnt vmcnt(0)
	v_lshlrev_b64 v[32:33], 3, v[62:63]
	v_mov_b32_e32 v64, s39
	v_add_co_u32_e64 v32, s[30:31], s38, v32
	v_addc_co_u32_e64 v33, s[30:31], v64, v33, s[30:31]
	global_load_dwordx2 v[32:33], v[32:33], off
	s_or_b64 exec, exec, s[34:35]
	s_and_saveexec_b64 s[30:31], vcc
	s_cbranch_execz .LBB45_35
.LBB45_51:                              ;   in Loop: Header=BB45_3 Depth=1
	v_lshlrev_b64 v[64:65], 3, v[0:1]
	v_mov_b32_e32 v1, s41
	v_add_co_u32_e32 v64, vcc, s40, v64
	v_addc_co_u32_e32 v65, vcc, v1, v65, vcc
	s_waitcnt vmcnt(0)
	global_store_dwordx2 v[64:65], v[2:3], off
	s_or_b64 exec, exec, s[30:31]
	s_and_saveexec_b64 s[30:31], s[0:1]
	s_cbranch_execz .LBB45_36
.LBB45_52:                              ;   in Loop: Header=BB45_3 Depth=1
	v_lshlrev_b64 v[34:35], 3, v[34:35]
	v_mov_b32_e32 v1, s41
	v_add_co_u32_e32 v34, vcc, s40, v34
	v_addc_co_u32_e32 v35, vcc, v1, v35, vcc
	s_waitcnt vmcnt(0)
	global_store_dwordx2 v[34:35], v[4:5], off
	s_or_b64 exec, exec, s[30:31]
	s_and_saveexec_b64 s[0:1], s[2:3]
	s_cbranch_execz .LBB45_37
.LBB45_53:                              ;   in Loop: Header=BB45_3 Depth=1
	v_lshlrev_b64 v[34:35], 3, v[36:37]
	v_mov_b32_e32 v1, s41
	v_add_co_u32_e32 v34, vcc, s40, v34
	v_addc_co_u32_e32 v35, vcc, v1, v35, vcc
	s_waitcnt vmcnt(0)
	global_store_dwordx2 v[34:35], v[6:7], off
	s_or_b64 exec, exec, s[0:1]
	s_and_saveexec_b64 s[0:1], s[4:5]
	s_cbranch_execz .LBB45_38
.LBB45_54:                              ;   in Loop: Header=BB45_3 Depth=1
	v_lshlrev_b64 v[34:35], 3, v[38:39]
	v_mov_b32_e32 v1, s41
	v_add_co_u32_e32 v34, vcc, s40, v34
	v_addc_co_u32_e32 v35, vcc, v1, v35, vcc
	s_waitcnt vmcnt(0)
	global_store_dwordx2 v[34:35], v[8:9], off
	s_or_b64 exec, exec, s[0:1]
	s_and_saveexec_b64 s[0:1], s[6:7]
	s_cbranch_execz .LBB45_39
.LBB45_55:                              ;   in Loop: Header=BB45_3 Depth=1
	v_lshlrev_b64 v[34:35], 3, v[40:41]
	v_mov_b32_e32 v1, s41
	v_add_co_u32_e32 v34, vcc, s40, v34
	v_addc_co_u32_e32 v35, vcc, v1, v35, vcc
	s_waitcnt vmcnt(0)
	global_store_dwordx2 v[34:35], v[10:11], off
	s_or_b64 exec, exec, s[0:1]
	s_and_saveexec_b64 s[0:1], s[8:9]
	s_cbranch_execz .LBB45_40
.LBB45_56:                              ;   in Loop: Header=BB45_3 Depth=1
	v_lshlrev_b64 v[34:35], 3, v[42:43]
	v_mov_b32_e32 v1, s41
	v_add_co_u32_e32 v34, vcc, s40, v34
	v_addc_co_u32_e32 v35, vcc, v1, v35, vcc
	s_waitcnt vmcnt(0)
	global_store_dwordx2 v[34:35], v[12:13], off
	s_or_b64 exec, exec, s[0:1]
	s_and_saveexec_b64 s[0:1], s[10:11]
	s_cbranch_execz .LBB45_41
.LBB45_57:                              ;   in Loop: Header=BB45_3 Depth=1
	v_lshlrev_b64 v[34:35], 3, v[44:45]
	v_mov_b32_e32 v1, s41
	v_add_co_u32_e32 v34, vcc, s40, v34
	v_addc_co_u32_e32 v35, vcc, v1, v35, vcc
	s_waitcnt vmcnt(0)
	global_store_dwordx2 v[34:35], v[14:15], off
	s_or_b64 exec, exec, s[0:1]
	s_and_saveexec_b64 s[0:1], s[12:13]
	s_cbranch_execz .LBB45_42
.LBB45_58:                              ;   in Loop: Header=BB45_3 Depth=1
	v_lshlrev_b64 v[34:35], 3, v[46:47]
	v_mov_b32_e32 v1, s41
	v_add_co_u32_e32 v34, vcc, s40, v34
	v_addc_co_u32_e32 v35, vcc, v1, v35, vcc
	s_waitcnt vmcnt(0)
	global_store_dwordx2 v[34:35], v[16:17], off
	s_or_b64 exec, exec, s[0:1]
	s_and_saveexec_b64 s[0:1], s[14:15]
	s_cbranch_execz .LBB45_43
.LBB45_59:                              ;   in Loop: Header=BB45_3 Depth=1
	v_lshlrev_b64 v[34:35], 3, v[48:49]
	v_mov_b32_e32 v1, s41
	v_add_co_u32_e32 v34, vcc, s40, v34
	v_addc_co_u32_e32 v35, vcc, v1, v35, vcc
	s_waitcnt vmcnt(0)
	global_store_dwordx2 v[34:35], v[18:19], off
	s_or_b64 exec, exec, s[0:1]
	s_and_saveexec_b64 s[0:1], s[16:17]
	s_cbranch_execz .LBB45_44
.LBB45_60:                              ;   in Loop: Header=BB45_3 Depth=1
	v_lshlrev_b64 v[34:35], 3, v[50:51]
	v_mov_b32_e32 v1, s41
	v_add_co_u32_e32 v34, vcc, s40, v34
	v_addc_co_u32_e32 v35, vcc, v1, v35, vcc
	s_waitcnt vmcnt(0)
	global_store_dwordx2 v[34:35], v[20:21], off
	s_or_b64 exec, exec, s[0:1]
	s_and_saveexec_b64 s[0:1], s[18:19]
	s_cbranch_execz .LBB45_45
.LBB45_61:                              ;   in Loop: Header=BB45_3 Depth=1
	v_lshlrev_b64 v[34:35], 3, v[52:53]
	v_mov_b32_e32 v1, s41
	v_add_co_u32_e32 v34, vcc, s40, v34
	v_addc_co_u32_e32 v35, vcc, v1, v35, vcc
	s_waitcnt vmcnt(0)
	global_store_dwordx2 v[34:35], v[22:23], off
	s_or_b64 exec, exec, s[0:1]
	s_and_saveexec_b64 s[0:1], s[20:21]
	s_cbranch_execz .LBB45_46
.LBB45_62:                              ;   in Loop: Header=BB45_3 Depth=1
	v_lshlrev_b64 v[34:35], 3, v[54:55]
	v_mov_b32_e32 v1, s41
	v_add_co_u32_e32 v34, vcc, s40, v34
	v_addc_co_u32_e32 v35, vcc, v1, v35, vcc
	s_waitcnt vmcnt(0)
	global_store_dwordx2 v[34:35], v[24:25], off
	s_or_b64 exec, exec, s[0:1]
	s_and_saveexec_b64 s[0:1], s[22:23]
	s_cbranch_execz .LBB45_47
.LBB45_63:                              ;   in Loop: Header=BB45_3 Depth=1
	v_lshlrev_b64 v[34:35], 3, v[56:57]
	v_mov_b32_e32 v1, s41
	v_add_co_u32_e32 v34, vcc, s40, v34
	v_addc_co_u32_e32 v35, vcc, v1, v35, vcc
	s_waitcnt vmcnt(0)
	global_store_dwordx2 v[34:35], v[26:27], off
	s_or_b64 exec, exec, s[0:1]
	s_and_saveexec_b64 s[0:1], s[24:25]
	s_cbranch_execz .LBB45_48
.LBB45_64:                              ;   in Loop: Header=BB45_3 Depth=1
	v_lshlrev_b64 v[34:35], 3, v[58:59]
	v_mov_b32_e32 v1, s41
	v_add_co_u32_e32 v34, vcc, s40, v34
	v_addc_co_u32_e32 v35, vcc, v1, v35, vcc
	s_waitcnt vmcnt(0)
	global_store_dwordx2 v[34:35], v[28:29], off
	s_or_b64 exec, exec, s[0:1]
	s_and_saveexec_b64 s[0:1], s[26:27]
	s_cbranch_execz .LBB45_49
.LBB45_65:                              ;   in Loop: Header=BB45_3 Depth=1
	v_lshlrev_b64 v[34:35], 3, v[60:61]
	v_mov_b32_e32 v1, s41
	v_add_co_u32_e32 v34, vcc, s40, v34
	v_addc_co_u32_e32 v35, vcc, v1, v35, vcc
	s_waitcnt vmcnt(0)
	global_store_dwordx2 v[34:35], v[30:31], off
	s_or_b64 exec, exec, s[0:1]
	s_and_saveexec_b64 s[0:1], s[28:29]
	s_cbranch_execz .LBB45_2
.LBB45_66:                              ;   in Loop: Header=BB45_3 Depth=1
	v_lshlrev_b64 v[34:35], 3, v[62:63]
	v_mov_b32_e32 v1, s41
	v_add_co_u32_e32 v34, vcc, s40, v34
	v_addc_co_u32_e32 v35, vcc, v1, v35, vcc
	s_waitcnt vmcnt(0)
	global_store_dwordx2 v[34:35], v[32:33], off
	s_branch .LBB45_2
.LBB45_67:
	s_endpgm
	.section	.rodata,"a",@progbits
	.p2align	6, 0x0
	.amdhsa_kernel _ZN9rocsolver6v33100L11stedc_copyCIdPdS2_EEviT0_iilT1_iil
		.amdhsa_group_segment_fixed_size 0
		.amdhsa_private_segment_fixed_size 0
		.amdhsa_kernarg_size 312
		.amdhsa_user_sgpr_count 6
		.amdhsa_user_sgpr_private_segment_buffer 1
		.amdhsa_user_sgpr_dispatch_ptr 0
		.amdhsa_user_sgpr_queue_ptr 0
		.amdhsa_user_sgpr_kernarg_segment_ptr 1
		.amdhsa_user_sgpr_dispatch_id 0
		.amdhsa_user_sgpr_flat_scratch_init 0
		.amdhsa_user_sgpr_private_segment_size 0
		.amdhsa_uses_dynamic_stack 0
		.amdhsa_system_sgpr_private_segment_wavefront_offset 0
		.amdhsa_system_sgpr_workgroup_id_x 1
		.amdhsa_system_sgpr_workgroup_id_y 1
		.amdhsa_system_sgpr_workgroup_id_z 0
		.amdhsa_system_sgpr_workgroup_info 0
		.amdhsa_system_vgpr_workitem_id 0
		.amdhsa_next_free_vgpr 66
		.amdhsa_next_free_sgpr 57
		.amdhsa_reserve_vcc 1
		.amdhsa_reserve_flat_scratch 0
		.amdhsa_float_round_mode_32 0
		.amdhsa_float_round_mode_16_64 0
		.amdhsa_float_denorm_mode_32 3
		.amdhsa_float_denorm_mode_16_64 3
		.amdhsa_dx10_clamp 1
		.amdhsa_ieee_mode 1
		.amdhsa_fp16_overflow 0
		.amdhsa_exception_fp_ieee_invalid_op 0
		.amdhsa_exception_fp_denorm_src 0
		.amdhsa_exception_fp_ieee_div_zero 0
		.amdhsa_exception_fp_ieee_overflow 0
		.amdhsa_exception_fp_ieee_underflow 0
		.amdhsa_exception_fp_ieee_inexact 0
		.amdhsa_exception_int_div_zero 0
	.end_amdhsa_kernel
	.section	.text._ZN9rocsolver6v33100L11stedc_copyCIdPdS2_EEviT0_iilT1_iil,"axG",@progbits,_ZN9rocsolver6v33100L11stedc_copyCIdPdS2_EEviT0_iilT1_iil,comdat
.Lfunc_end45:
	.size	_ZN9rocsolver6v33100L11stedc_copyCIdPdS2_EEviT0_iilT1_iil, .Lfunc_end45-_ZN9rocsolver6v33100L11stedc_copyCIdPdS2_EEviT0_iilT1_iil
                                        ; -- End function
	.set _ZN9rocsolver6v33100L11stedc_copyCIdPdS2_EEviT0_iilT1_iil.num_vgpr, 66
	.set _ZN9rocsolver6v33100L11stedc_copyCIdPdS2_EEviT0_iilT1_iil.num_agpr, 0
	.set _ZN9rocsolver6v33100L11stedc_copyCIdPdS2_EEviT0_iilT1_iil.numbered_sgpr, 57
	.set _ZN9rocsolver6v33100L11stedc_copyCIdPdS2_EEviT0_iilT1_iil.num_named_barrier, 0
	.set _ZN9rocsolver6v33100L11stedc_copyCIdPdS2_EEviT0_iilT1_iil.private_seg_size, 0
	.set _ZN9rocsolver6v33100L11stedc_copyCIdPdS2_EEviT0_iilT1_iil.uses_vcc, 1
	.set _ZN9rocsolver6v33100L11stedc_copyCIdPdS2_EEviT0_iilT1_iil.uses_flat_scratch, 0
	.set _ZN9rocsolver6v33100L11stedc_copyCIdPdS2_EEviT0_iilT1_iil.has_dyn_sized_stack, 0
	.set _ZN9rocsolver6v33100L11stedc_copyCIdPdS2_EEviT0_iilT1_iil.has_recursion, 0
	.set _ZN9rocsolver6v33100L11stedc_copyCIdPdS2_EEviT0_iilT1_iil.has_indirect_call, 0
	.section	.AMDGPU.csdata,"",@progbits
; Kernel info:
; codeLenInByte = 2572
; TotalNumSgprs: 61
; NumVgprs: 66
; ScratchSize: 0
; MemoryBound: 0
; FloatMode: 240
; IeeeMode: 1
; LDSByteSize: 0 bytes/workgroup (compile time only)
; SGPRBlocks: 7
; VGPRBlocks: 16
; NumSGPRsForWavesPerEU: 61
; NumVGPRsForWavesPerEU: 66
; Occupancy: 3
; WaveLimiterHint : 0
; COMPUTE_PGM_RSRC2:SCRATCH_EN: 0
; COMPUTE_PGM_RSRC2:USER_SGPR: 6
; COMPUTE_PGM_RSRC2:TRAP_HANDLER: 0
; COMPUTE_PGM_RSRC2:TGID_X_EN: 1
; COMPUTE_PGM_RSRC2:TGID_Y_EN: 1
; COMPUTE_PGM_RSRC2:TGID_Z_EN: 0
; COMPUTE_PGM_RSRC2:TIDIG_COMP_CNT: 0
	.section	.text._ZN9rocsolver6v33100L16stedc_reshuffleCIdPdS2_EEviT0_iilT1_iilPi,"axG",@progbits,_ZN9rocsolver6v33100L16stedc_reshuffleCIdPdS2_EEviT0_iilT1_iilPi,comdat
	.globl	_ZN9rocsolver6v33100L16stedc_reshuffleCIdPdS2_EEviT0_iilT1_iilPi ; -- Begin function _ZN9rocsolver6v33100L16stedc_reshuffleCIdPdS2_EEviT0_iilT1_iilPi
	.p2align	8
	.type	_ZN9rocsolver6v33100L16stedc_reshuffleCIdPdS2_EEviT0_iilT1_iilPi,@function
_ZN9rocsolver6v33100L16stedc_reshuffleCIdPdS2_EEviT0_iilT1_iilPi: ; @_ZN9rocsolver6v33100L16stedc_reshuffleCIdPdS2_EEviT0_iilT1_iilPi
; %bb.0:
	s_load_dword s0, s[4:5], 0x4c
	s_load_dword s37, s[4:5], 0x0
	s_waitcnt lgkmcnt(0)
	s_and_b32 s33, s0, 0xffff
	s_lshl_b32 s36, s33, 4
	v_cvt_f32_u32_e32 v1, s36
	s_sub_i32 s2, 0, s36
	s_add_i32 s0, s37, -1
	s_ashr_i32 s1, s0, 31
	v_rcp_iflag_f32_e32 v1, v1
	s_abs_i32 s0, s0
	v_mul_f32_e32 v1, 0x4f7ffffe, v1
	v_cvt_u32_f32_e32 v1, v1
	v_readfirstlane_b32 s3, v1
	s_mul_i32 s2, s2, s3
	s_mul_hi_u32 s2, s3, s2
	s_add_i32 s3, s3, s2
	s_mul_hi_u32 s2, s0, s3
	s_mul_i32 s3, s2, s36
	s_sub_i32 s0, s0, s3
	s_add_i32 s8, s2, 1
	s_sub_i32 s3, s0, s36
	s_cmp_ge_u32 s0, s36
	s_cselect_b32 s2, s8, s2
	s_cselect_b32 s0, s3, s0
	s_add_i32 s3, s2, 1
	s_cmp_ge_u32 s0, s36
	s_cselect_b32 s0, s3, s2
	s_xor_b32 s0, s0, s1
	s_sub_i32 s16, s0, s1
	s_cmp_lt_i32 s16, 0
	s_cbranch_scc1 .LBB46_67
; %bb.1:
	s_load_dwordx8 s[8:15], s[4:5], 0x8
	s_load_dwordx2 s[18:19], s[4:5], 0x28
	s_load_dwordx4 s[0:3], s[4:5], 0x30
	s_mul_i32 s4, s7, s37
	s_mul_i32 s4, s4, 13
	s_ashr_i32 s5, s4, 31
	s_lshl_b64 s[4:5], s[4:5], 2
	s_waitcnt lgkmcnt(0)
	s_add_u32 s4, s2, s4
	s_mul_i32 s2, s37, 10
	s_addc_u32 s5, s3, s5
	s_ashr_i32 s3, s2, 31
	s_lshl_b64 s[2:3], s[2:3], 2
	s_add_u32 s4, s4, s2
	s_addc_u32 s5, s5, s3
	s_mov_b32 s17, s7
	s_ashr_i32 s7, s6, 31
	s_lshl_b64 s[2:3], s[6:7], 2
	s_add_u32 s2, s4, s2
	s_addc_u32 s3, s5, s3
	s_load_dword s7, s[2:3], 0x0
	s_ashr_i32 s3, s10, 31
	s_mov_b32 s2, s10
	s_ashr_i32 s10, s17, 31
	s_mul_hi_u32 s4, s12, s17
	s_mul_i32 s5, s12, s10
	s_add_i32 s4, s4, s5
	s_mul_i32 s5, s13, s17
	s_add_i32 s5, s4, s5
	s_mul_i32 s4, s12, s17
	s_lshl_b64 s[4:5], s[4:5], 3
	s_add_u32 s4, s8, s4
	s_addc_u32 s5, s9, s5
	s_lshl_b64 s[2:3], s[2:3], 3
	s_add_u32 s4, s4, s2
	s_mul_hi_u32 s8, s0, s17
	s_mul_i32 s9, s0, s10
	s_addc_u32 s5, s5, s3
	s_add_i32 s8, s8, s9
	s_mul_i32 s1, s1, s17
	s_add_i32 s1, s8, s1
	s_mul_i32 s0, s0, s17
	s_ashr_i32 s3, s18, 31
	s_lshl_b64 s[0:1], s[0:1], 3
	s_mov_b32 s2, s18
	s_add_u32 s8, s14, s0
	s_addc_u32 s9, s15, s1
	s_lshl_b64 s[0:1], s[2:3], 3
	s_add_u32 s2, s8, s0
	s_waitcnt lgkmcnt(0)
	s_mul_i32 s0, s7, s11
	s_addc_u32 s3, s9, s1
	s_ashr_i32 s1, s0, 31
	s_lshl_b64 s[0:1], s[0:1], 3
	s_add_u32 s38, s4, s0
	s_mul_i32 s0, s19, s6
	s_addc_u32 s39, s5, s1
	s_ashr_i32 s1, s0, 31
	s_lshl_b64 s[0:1], s[0:1], 3
	s_add_u32 s40, s2, s0
	v_mov_b32_e32 v2, 0
	s_addc_u32 s41, s3, s1
	s_add_i32 s42, s16, 1
	s_lshl_b32 s43, s33, 1
	s_mul_i32 s44, s33, 3
	s_lshl_b32 s45, s33, 2
	s_mul_i32 s46, s33, 5
	s_mul_i32 s47, s33, 6
	;; [unrolled: 1-line block ×3, first 2 shown]
	s_lshl_b32 s49, s33, 3
	s_mul_i32 s50, s33, 9
	s_mul_i32 s51, s33, 10
	;; [unrolled: 1-line block ×7, first 2 shown]
	v_mov_b32_e32 v3, v2
	v_mov_b32_e32 v4, v2
	;; [unrolled: 1-line block ×31, first 2 shown]
	s_branch .LBB46_3
.LBB46_2:                               ;   in Loop: Header=BB46_3 Depth=1
	s_or_b64 exec, exec, s[0:1]
	s_add_i32 s42, s42, -1
	s_cmp_eq_u32 s42, 0
	v_add_u32_e32 v0, s36, v0
	s_cbranch_scc1 .LBB46_67
.LBB46_3:                               ; =>This Inner Loop Header: Depth=1
	v_cmp_gt_i32_e32 vcc, s37, v0
	v_ashrrev_i32_e32 v1, 31, v0
	s_and_saveexec_b64 s[2:3], vcc
	s_cbranch_execz .LBB46_5
; %bb.4:                                ;   in Loop: Header=BB46_3 Depth=1
	s_waitcnt vmcnt(0)
	v_lshlrev_b64 v[2:3], 3, v[0:1]
	v_mov_b32_e32 v34, s39
	v_add_co_u32_e64 v2, s[0:1], s38, v2
	v_addc_co_u32_e64 v3, s[0:1], v34, v3, s[0:1]
	global_load_dwordx2 v[2:3], v[2:3], off
.LBB46_5:                               ;   in Loop: Header=BB46_3 Depth=1
	s_or_b64 exec, exec, s[2:3]
	v_add_u32_e32 v34, s33, v0
	v_cmp_gt_i32_e64 s[0:1], s37, v34
	v_ashrrev_i32_e32 v35, 31, v34
	s_and_saveexec_b64 s[4:5], s[0:1]
	s_cbranch_execz .LBB46_7
; %bb.6:                                ;   in Loop: Header=BB46_3 Depth=1
	s_waitcnt vmcnt(0)
	v_lshlrev_b64 v[4:5], 3, v[34:35]
	v_mov_b32_e32 v36, s39
	v_add_co_u32_e64 v4, s[2:3], s38, v4
	v_addc_co_u32_e64 v5, s[2:3], v36, v5, s[2:3]
	global_load_dwordx2 v[4:5], v[4:5], off
.LBB46_7:                               ;   in Loop: Header=BB46_3 Depth=1
	s_or_b64 exec, exec, s[4:5]
	v_add_u32_e32 v36, s43, v0
	v_add_u32_e32 v39, s33, v34
	v_cmp_gt_i32_e64 s[2:3], s37, v39
	v_ashrrev_i32_e32 v37, 31, v36
	s_and_saveexec_b64 s[6:7], s[2:3]
	s_cbranch_execz .LBB46_9
; %bb.8:                                ;   in Loop: Header=BB46_3 Depth=1
	s_waitcnt vmcnt(0)
	v_lshlrev_b64 v[6:7], 3, v[36:37]
	v_mov_b32_e32 v38, s39
	v_add_co_u32_e64 v6, s[4:5], s38, v6
	v_addc_co_u32_e64 v7, s[4:5], v38, v7, s[4:5]
	global_load_dwordx2 v[6:7], v[6:7], off
.LBB46_9:                               ;   in Loop: Header=BB46_3 Depth=1
	s_or_b64 exec, exec, s[6:7]
	v_add_u32_e32 v38, s44, v0
	v_add_u32_e32 v41, s33, v39
	v_cmp_gt_i32_e64 s[4:5], s37, v41
	v_ashrrev_i32_e32 v39, 31, v38
	s_and_saveexec_b64 s[8:9], s[4:5]
	s_cbranch_execz .LBB46_11
; %bb.10:                               ;   in Loop: Header=BB46_3 Depth=1
	s_waitcnt vmcnt(0)
	v_lshlrev_b64 v[8:9], 3, v[38:39]
	v_mov_b32_e32 v40, s39
	v_add_co_u32_e64 v8, s[6:7], s38, v8
	v_addc_co_u32_e64 v9, s[6:7], v40, v9, s[6:7]
	global_load_dwordx2 v[8:9], v[8:9], off
.LBB46_11:                              ;   in Loop: Header=BB46_3 Depth=1
	s_or_b64 exec, exec, s[8:9]
	v_add_u32_e32 v40, s45, v0
	v_add_u32_e32 v43, s33, v41
	v_cmp_gt_i32_e64 s[6:7], s37, v43
	v_ashrrev_i32_e32 v41, 31, v40
	s_and_saveexec_b64 s[10:11], s[6:7]
	s_cbranch_execz .LBB46_13
; %bb.12:                               ;   in Loop: Header=BB46_3 Depth=1
	s_waitcnt vmcnt(0)
	v_lshlrev_b64 v[10:11], 3, v[40:41]
	v_mov_b32_e32 v42, s39
	v_add_co_u32_e64 v10, s[8:9], s38, v10
	v_addc_co_u32_e64 v11, s[8:9], v42, v11, s[8:9]
	global_load_dwordx2 v[10:11], v[10:11], off
.LBB46_13:                              ;   in Loop: Header=BB46_3 Depth=1
	s_or_b64 exec, exec, s[10:11]
	v_add_u32_e32 v42, s46, v0
	v_add_u32_e32 v45, s33, v43
	v_cmp_gt_i32_e64 s[8:9], s37, v45
	v_ashrrev_i32_e32 v43, 31, v42
	s_and_saveexec_b64 s[12:13], s[8:9]
	s_cbranch_execz .LBB46_15
; %bb.14:                               ;   in Loop: Header=BB46_3 Depth=1
	s_waitcnt vmcnt(0)
	v_lshlrev_b64 v[12:13], 3, v[42:43]
	v_mov_b32_e32 v44, s39
	v_add_co_u32_e64 v12, s[10:11], s38, v12
	v_addc_co_u32_e64 v13, s[10:11], v44, v13, s[10:11]
	global_load_dwordx2 v[12:13], v[12:13], off
.LBB46_15:                              ;   in Loop: Header=BB46_3 Depth=1
	s_or_b64 exec, exec, s[12:13]
	v_add_u32_e32 v44, s47, v0
	v_add_u32_e32 v47, s33, v45
	v_cmp_gt_i32_e64 s[10:11], s37, v47
	v_ashrrev_i32_e32 v45, 31, v44
	s_and_saveexec_b64 s[14:15], s[10:11]
	s_cbranch_execz .LBB46_17
; %bb.16:                               ;   in Loop: Header=BB46_3 Depth=1
	s_waitcnt vmcnt(0)
	v_lshlrev_b64 v[14:15], 3, v[44:45]
	v_mov_b32_e32 v46, s39
	v_add_co_u32_e64 v14, s[12:13], s38, v14
	v_addc_co_u32_e64 v15, s[12:13], v46, v15, s[12:13]
	global_load_dwordx2 v[14:15], v[14:15], off
.LBB46_17:                              ;   in Loop: Header=BB46_3 Depth=1
	s_or_b64 exec, exec, s[14:15]
	v_add_u32_e32 v46, s48, v0
	v_add_u32_e32 v49, s33, v47
	v_cmp_gt_i32_e64 s[12:13], s37, v49
	v_ashrrev_i32_e32 v47, 31, v46
	s_and_saveexec_b64 s[16:17], s[12:13]
	s_cbranch_execz .LBB46_19
; %bb.18:                               ;   in Loop: Header=BB46_3 Depth=1
	s_waitcnt vmcnt(0)
	v_lshlrev_b64 v[16:17], 3, v[46:47]
	v_mov_b32_e32 v48, s39
	v_add_co_u32_e64 v16, s[14:15], s38, v16
	v_addc_co_u32_e64 v17, s[14:15], v48, v17, s[14:15]
	global_load_dwordx2 v[16:17], v[16:17], off
.LBB46_19:                              ;   in Loop: Header=BB46_3 Depth=1
	s_or_b64 exec, exec, s[16:17]
	v_add_u32_e32 v48, s49, v0
	v_add_u32_e32 v51, s33, v49
	v_cmp_gt_i32_e64 s[14:15], s37, v51
	v_ashrrev_i32_e32 v49, 31, v48
	s_and_saveexec_b64 s[18:19], s[14:15]
	s_cbranch_execz .LBB46_21
; %bb.20:                               ;   in Loop: Header=BB46_3 Depth=1
	s_waitcnt vmcnt(0)
	v_lshlrev_b64 v[18:19], 3, v[48:49]
	v_mov_b32_e32 v50, s39
	v_add_co_u32_e64 v18, s[16:17], s38, v18
	v_addc_co_u32_e64 v19, s[16:17], v50, v19, s[16:17]
	global_load_dwordx2 v[18:19], v[18:19], off
.LBB46_21:                              ;   in Loop: Header=BB46_3 Depth=1
	s_or_b64 exec, exec, s[18:19]
	v_add_u32_e32 v50, s50, v0
	v_add_u32_e32 v53, s33, v51
	v_cmp_gt_i32_e64 s[16:17], s37, v53
	v_ashrrev_i32_e32 v51, 31, v50
	s_and_saveexec_b64 s[20:21], s[16:17]
	s_cbranch_execz .LBB46_23
; %bb.22:                               ;   in Loop: Header=BB46_3 Depth=1
	s_waitcnt vmcnt(0)
	v_lshlrev_b64 v[20:21], 3, v[50:51]
	v_mov_b32_e32 v52, s39
	v_add_co_u32_e64 v20, s[18:19], s38, v20
	v_addc_co_u32_e64 v21, s[18:19], v52, v21, s[18:19]
	global_load_dwordx2 v[20:21], v[20:21], off
.LBB46_23:                              ;   in Loop: Header=BB46_3 Depth=1
	s_or_b64 exec, exec, s[20:21]
	v_add_u32_e32 v52, s51, v0
	v_add_u32_e32 v55, s33, v53
	v_cmp_gt_i32_e64 s[18:19], s37, v55
	v_ashrrev_i32_e32 v53, 31, v52
	s_and_saveexec_b64 s[22:23], s[18:19]
	s_cbranch_execz .LBB46_25
; %bb.24:                               ;   in Loop: Header=BB46_3 Depth=1
	s_waitcnt vmcnt(0)
	v_lshlrev_b64 v[22:23], 3, v[52:53]
	v_mov_b32_e32 v54, s39
	v_add_co_u32_e64 v22, s[20:21], s38, v22
	v_addc_co_u32_e64 v23, s[20:21], v54, v23, s[20:21]
	global_load_dwordx2 v[22:23], v[22:23], off
.LBB46_25:                              ;   in Loop: Header=BB46_3 Depth=1
	s_or_b64 exec, exec, s[22:23]
	v_add_u32_e32 v54, s52, v0
	v_add_u32_e32 v57, s33, v55
	v_cmp_gt_i32_e64 s[20:21], s37, v57
	v_ashrrev_i32_e32 v55, 31, v54
	s_and_saveexec_b64 s[24:25], s[20:21]
	s_cbranch_execz .LBB46_27
; %bb.26:                               ;   in Loop: Header=BB46_3 Depth=1
	s_waitcnt vmcnt(0)
	v_lshlrev_b64 v[24:25], 3, v[54:55]
	v_mov_b32_e32 v56, s39
	v_add_co_u32_e64 v24, s[22:23], s38, v24
	v_addc_co_u32_e64 v25, s[22:23], v56, v25, s[22:23]
	global_load_dwordx2 v[24:25], v[24:25], off
.LBB46_27:                              ;   in Loop: Header=BB46_3 Depth=1
	s_or_b64 exec, exec, s[24:25]
	v_add_u32_e32 v56, s53, v0
	v_add_u32_e32 v59, s33, v57
	v_cmp_gt_i32_e64 s[22:23], s37, v59
	v_ashrrev_i32_e32 v57, 31, v56
	s_and_saveexec_b64 s[26:27], s[22:23]
	s_cbranch_execz .LBB46_29
; %bb.28:                               ;   in Loop: Header=BB46_3 Depth=1
	s_waitcnt vmcnt(0)
	v_lshlrev_b64 v[26:27], 3, v[56:57]
	v_mov_b32_e32 v58, s39
	v_add_co_u32_e64 v26, s[24:25], s38, v26
	v_addc_co_u32_e64 v27, s[24:25], v58, v27, s[24:25]
	global_load_dwordx2 v[26:27], v[26:27], off
.LBB46_29:                              ;   in Loop: Header=BB46_3 Depth=1
	s_or_b64 exec, exec, s[26:27]
	v_add_u32_e32 v58, s54, v0
	v_add_u32_e32 v61, s33, v59
	v_cmp_gt_i32_e64 s[24:25], s37, v61
	v_ashrrev_i32_e32 v59, 31, v58
	s_and_saveexec_b64 s[28:29], s[24:25]
	s_cbranch_execz .LBB46_31
; %bb.30:                               ;   in Loop: Header=BB46_3 Depth=1
	s_waitcnt vmcnt(0)
	v_lshlrev_b64 v[28:29], 3, v[58:59]
	v_mov_b32_e32 v60, s39
	v_add_co_u32_e64 v28, s[26:27], s38, v28
	v_addc_co_u32_e64 v29, s[26:27], v60, v29, s[26:27]
	global_load_dwordx2 v[28:29], v[28:29], off
.LBB46_31:                              ;   in Loop: Header=BB46_3 Depth=1
	s_or_b64 exec, exec, s[28:29]
	v_add_u32_e32 v60, s55, v0
	v_add_u32_e32 v63, s33, v61
	v_cmp_gt_i32_e64 s[26:27], s37, v63
	v_ashrrev_i32_e32 v61, 31, v60
	s_and_saveexec_b64 s[30:31], s[26:27]
	s_cbranch_execz .LBB46_33
; %bb.32:                               ;   in Loop: Header=BB46_3 Depth=1
	s_waitcnt vmcnt(0)
	v_lshlrev_b64 v[30:31], 3, v[60:61]
	v_mov_b32_e32 v62, s39
	v_add_co_u32_e64 v30, s[28:29], s38, v30
	v_addc_co_u32_e64 v31, s[28:29], v62, v31, s[28:29]
	global_load_dwordx2 v[30:31], v[30:31], off
.LBB46_33:                              ;   in Loop: Header=BB46_3 Depth=1
	s_or_b64 exec, exec, s[30:31]
	v_add_u32_e32 v62, s56, v0
	v_add_u32_e32 v63, s33, v63
	v_cmp_gt_i32_e64 s[28:29], s37, v63
	v_ashrrev_i32_e32 v63, 31, v62
	s_and_saveexec_b64 s[34:35], s[28:29]
	s_cbranch_execnz .LBB46_50
; %bb.34:                               ;   in Loop: Header=BB46_3 Depth=1
	s_or_b64 exec, exec, s[34:35]
	s_and_saveexec_b64 s[30:31], vcc
	s_cbranch_execnz .LBB46_51
.LBB46_35:                              ;   in Loop: Header=BB46_3 Depth=1
	s_or_b64 exec, exec, s[30:31]
	s_and_saveexec_b64 s[30:31], s[0:1]
	s_cbranch_execnz .LBB46_52
.LBB46_36:                              ;   in Loop: Header=BB46_3 Depth=1
	s_or_b64 exec, exec, s[30:31]
	s_and_saveexec_b64 s[0:1], s[2:3]
	s_cbranch_execnz .LBB46_53
.LBB46_37:                              ;   in Loop: Header=BB46_3 Depth=1
	s_or_b64 exec, exec, s[0:1]
	s_and_saveexec_b64 s[0:1], s[4:5]
	s_cbranch_execnz .LBB46_54
.LBB46_38:                              ;   in Loop: Header=BB46_3 Depth=1
	s_or_b64 exec, exec, s[0:1]
	s_and_saveexec_b64 s[0:1], s[6:7]
	s_cbranch_execnz .LBB46_55
.LBB46_39:                              ;   in Loop: Header=BB46_3 Depth=1
	s_or_b64 exec, exec, s[0:1]
	s_and_saveexec_b64 s[0:1], s[8:9]
	s_cbranch_execnz .LBB46_56
.LBB46_40:                              ;   in Loop: Header=BB46_3 Depth=1
	s_or_b64 exec, exec, s[0:1]
	s_and_saveexec_b64 s[0:1], s[10:11]
	s_cbranch_execnz .LBB46_57
.LBB46_41:                              ;   in Loop: Header=BB46_3 Depth=1
	s_or_b64 exec, exec, s[0:1]
	s_and_saveexec_b64 s[0:1], s[12:13]
	s_cbranch_execnz .LBB46_58
.LBB46_42:                              ;   in Loop: Header=BB46_3 Depth=1
	s_or_b64 exec, exec, s[0:1]
	s_and_saveexec_b64 s[0:1], s[14:15]
	s_cbranch_execnz .LBB46_59
.LBB46_43:                              ;   in Loop: Header=BB46_3 Depth=1
	s_or_b64 exec, exec, s[0:1]
	s_and_saveexec_b64 s[0:1], s[16:17]
	s_cbranch_execnz .LBB46_60
.LBB46_44:                              ;   in Loop: Header=BB46_3 Depth=1
	s_or_b64 exec, exec, s[0:1]
	s_and_saveexec_b64 s[0:1], s[18:19]
	s_cbranch_execnz .LBB46_61
.LBB46_45:                              ;   in Loop: Header=BB46_3 Depth=1
	s_or_b64 exec, exec, s[0:1]
	s_and_saveexec_b64 s[0:1], s[20:21]
	s_cbranch_execnz .LBB46_62
.LBB46_46:                              ;   in Loop: Header=BB46_3 Depth=1
	s_or_b64 exec, exec, s[0:1]
	s_and_saveexec_b64 s[0:1], s[22:23]
	s_cbranch_execnz .LBB46_63
.LBB46_47:                              ;   in Loop: Header=BB46_3 Depth=1
	s_or_b64 exec, exec, s[0:1]
	s_and_saveexec_b64 s[0:1], s[24:25]
	s_cbranch_execnz .LBB46_64
.LBB46_48:                              ;   in Loop: Header=BB46_3 Depth=1
	s_or_b64 exec, exec, s[0:1]
	s_and_saveexec_b64 s[0:1], s[26:27]
	s_cbranch_execnz .LBB46_65
.LBB46_49:                              ;   in Loop: Header=BB46_3 Depth=1
	s_or_b64 exec, exec, s[0:1]
	s_and_saveexec_b64 s[0:1], s[28:29]
	s_cbranch_execz .LBB46_2
	s_branch .LBB46_66
.LBB46_50:                              ;   in Loop: Header=BB46_3 Depth=1
	s_waitcnt vmcnt(0)
	v_lshlrev_b64 v[32:33], 3, v[62:63]
	v_mov_b32_e32 v64, s39
	v_add_co_u32_e64 v32, s[30:31], s38, v32
	v_addc_co_u32_e64 v33, s[30:31], v64, v33, s[30:31]
	global_load_dwordx2 v[32:33], v[32:33], off
	s_or_b64 exec, exec, s[34:35]
	s_and_saveexec_b64 s[30:31], vcc
	s_cbranch_execz .LBB46_35
.LBB46_51:                              ;   in Loop: Header=BB46_3 Depth=1
	v_lshlrev_b64 v[64:65], 3, v[0:1]
	v_mov_b32_e32 v1, s41
	v_add_co_u32_e32 v64, vcc, s40, v64
	v_addc_co_u32_e32 v65, vcc, v1, v65, vcc
	s_waitcnt vmcnt(0)
	global_store_dwordx2 v[64:65], v[2:3], off
	s_or_b64 exec, exec, s[30:31]
	s_and_saveexec_b64 s[30:31], s[0:1]
	s_cbranch_execz .LBB46_36
.LBB46_52:                              ;   in Loop: Header=BB46_3 Depth=1
	v_lshlrev_b64 v[34:35], 3, v[34:35]
	v_mov_b32_e32 v1, s41
	v_add_co_u32_e32 v34, vcc, s40, v34
	v_addc_co_u32_e32 v35, vcc, v1, v35, vcc
	s_waitcnt vmcnt(0)
	global_store_dwordx2 v[34:35], v[4:5], off
	s_or_b64 exec, exec, s[30:31]
	s_and_saveexec_b64 s[0:1], s[2:3]
	s_cbranch_execz .LBB46_37
.LBB46_53:                              ;   in Loop: Header=BB46_3 Depth=1
	v_lshlrev_b64 v[34:35], 3, v[36:37]
	v_mov_b32_e32 v1, s41
	v_add_co_u32_e32 v34, vcc, s40, v34
	v_addc_co_u32_e32 v35, vcc, v1, v35, vcc
	s_waitcnt vmcnt(0)
	global_store_dwordx2 v[34:35], v[6:7], off
	s_or_b64 exec, exec, s[0:1]
	s_and_saveexec_b64 s[0:1], s[4:5]
	s_cbranch_execz .LBB46_38
.LBB46_54:                              ;   in Loop: Header=BB46_3 Depth=1
	v_lshlrev_b64 v[34:35], 3, v[38:39]
	v_mov_b32_e32 v1, s41
	v_add_co_u32_e32 v34, vcc, s40, v34
	v_addc_co_u32_e32 v35, vcc, v1, v35, vcc
	s_waitcnt vmcnt(0)
	global_store_dwordx2 v[34:35], v[8:9], off
	s_or_b64 exec, exec, s[0:1]
	s_and_saveexec_b64 s[0:1], s[6:7]
	s_cbranch_execz .LBB46_39
.LBB46_55:                              ;   in Loop: Header=BB46_3 Depth=1
	v_lshlrev_b64 v[34:35], 3, v[40:41]
	v_mov_b32_e32 v1, s41
	v_add_co_u32_e32 v34, vcc, s40, v34
	v_addc_co_u32_e32 v35, vcc, v1, v35, vcc
	s_waitcnt vmcnt(0)
	global_store_dwordx2 v[34:35], v[10:11], off
	s_or_b64 exec, exec, s[0:1]
	s_and_saveexec_b64 s[0:1], s[8:9]
	s_cbranch_execz .LBB46_40
.LBB46_56:                              ;   in Loop: Header=BB46_3 Depth=1
	v_lshlrev_b64 v[34:35], 3, v[42:43]
	v_mov_b32_e32 v1, s41
	v_add_co_u32_e32 v34, vcc, s40, v34
	v_addc_co_u32_e32 v35, vcc, v1, v35, vcc
	s_waitcnt vmcnt(0)
	global_store_dwordx2 v[34:35], v[12:13], off
	s_or_b64 exec, exec, s[0:1]
	s_and_saveexec_b64 s[0:1], s[10:11]
	s_cbranch_execz .LBB46_41
.LBB46_57:                              ;   in Loop: Header=BB46_3 Depth=1
	v_lshlrev_b64 v[34:35], 3, v[44:45]
	v_mov_b32_e32 v1, s41
	v_add_co_u32_e32 v34, vcc, s40, v34
	v_addc_co_u32_e32 v35, vcc, v1, v35, vcc
	s_waitcnt vmcnt(0)
	global_store_dwordx2 v[34:35], v[14:15], off
	s_or_b64 exec, exec, s[0:1]
	s_and_saveexec_b64 s[0:1], s[12:13]
	s_cbranch_execz .LBB46_42
.LBB46_58:                              ;   in Loop: Header=BB46_3 Depth=1
	v_lshlrev_b64 v[34:35], 3, v[46:47]
	v_mov_b32_e32 v1, s41
	v_add_co_u32_e32 v34, vcc, s40, v34
	v_addc_co_u32_e32 v35, vcc, v1, v35, vcc
	s_waitcnt vmcnt(0)
	global_store_dwordx2 v[34:35], v[16:17], off
	s_or_b64 exec, exec, s[0:1]
	s_and_saveexec_b64 s[0:1], s[14:15]
	s_cbranch_execz .LBB46_43
.LBB46_59:                              ;   in Loop: Header=BB46_3 Depth=1
	v_lshlrev_b64 v[34:35], 3, v[48:49]
	v_mov_b32_e32 v1, s41
	v_add_co_u32_e32 v34, vcc, s40, v34
	v_addc_co_u32_e32 v35, vcc, v1, v35, vcc
	s_waitcnt vmcnt(0)
	global_store_dwordx2 v[34:35], v[18:19], off
	s_or_b64 exec, exec, s[0:1]
	s_and_saveexec_b64 s[0:1], s[16:17]
	s_cbranch_execz .LBB46_44
.LBB46_60:                              ;   in Loop: Header=BB46_3 Depth=1
	v_lshlrev_b64 v[34:35], 3, v[50:51]
	v_mov_b32_e32 v1, s41
	v_add_co_u32_e32 v34, vcc, s40, v34
	v_addc_co_u32_e32 v35, vcc, v1, v35, vcc
	s_waitcnt vmcnt(0)
	global_store_dwordx2 v[34:35], v[20:21], off
	s_or_b64 exec, exec, s[0:1]
	s_and_saveexec_b64 s[0:1], s[18:19]
	s_cbranch_execz .LBB46_45
.LBB46_61:                              ;   in Loop: Header=BB46_3 Depth=1
	v_lshlrev_b64 v[34:35], 3, v[52:53]
	v_mov_b32_e32 v1, s41
	v_add_co_u32_e32 v34, vcc, s40, v34
	v_addc_co_u32_e32 v35, vcc, v1, v35, vcc
	s_waitcnt vmcnt(0)
	global_store_dwordx2 v[34:35], v[22:23], off
	s_or_b64 exec, exec, s[0:1]
	s_and_saveexec_b64 s[0:1], s[20:21]
	s_cbranch_execz .LBB46_46
.LBB46_62:                              ;   in Loop: Header=BB46_3 Depth=1
	v_lshlrev_b64 v[34:35], 3, v[54:55]
	v_mov_b32_e32 v1, s41
	v_add_co_u32_e32 v34, vcc, s40, v34
	v_addc_co_u32_e32 v35, vcc, v1, v35, vcc
	s_waitcnt vmcnt(0)
	global_store_dwordx2 v[34:35], v[24:25], off
	s_or_b64 exec, exec, s[0:1]
	s_and_saveexec_b64 s[0:1], s[22:23]
	s_cbranch_execz .LBB46_47
.LBB46_63:                              ;   in Loop: Header=BB46_3 Depth=1
	v_lshlrev_b64 v[34:35], 3, v[56:57]
	v_mov_b32_e32 v1, s41
	v_add_co_u32_e32 v34, vcc, s40, v34
	v_addc_co_u32_e32 v35, vcc, v1, v35, vcc
	s_waitcnt vmcnt(0)
	global_store_dwordx2 v[34:35], v[26:27], off
	s_or_b64 exec, exec, s[0:1]
	s_and_saveexec_b64 s[0:1], s[24:25]
	s_cbranch_execz .LBB46_48
.LBB46_64:                              ;   in Loop: Header=BB46_3 Depth=1
	v_lshlrev_b64 v[34:35], 3, v[58:59]
	v_mov_b32_e32 v1, s41
	v_add_co_u32_e32 v34, vcc, s40, v34
	v_addc_co_u32_e32 v35, vcc, v1, v35, vcc
	s_waitcnt vmcnt(0)
	global_store_dwordx2 v[34:35], v[28:29], off
	s_or_b64 exec, exec, s[0:1]
	s_and_saveexec_b64 s[0:1], s[26:27]
	s_cbranch_execz .LBB46_49
.LBB46_65:                              ;   in Loop: Header=BB46_3 Depth=1
	v_lshlrev_b64 v[34:35], 3, v[60:61]
	v_mov_b32_e32 v1, s41
	v_add_co_u32_e32 v34, vcc, s40, v34
	v_addc_co_u32_e32 v35, vcc, v1, v35, vcc
	s_waitcnt vmcnt(0)
	global_store_dwordx2 v[34:35], v[30:31], off
	s_or_b64 exec, exec, s[0:1]
	s_and_saveexec_b64 s[0:1], s[28:29]
	s_cbranch_execz .LBB46_2
.LBB46_66:                              ;   in Loop: Header=BB46_3 Depth=1
	v_lshlrev_b64 v[34:35], 3, v[62:63]
	v_mov_b32_e32 v1, s41
	v_add_co_u32_e32 v34, vcc, s40, v34
	v_addc_co_u32_e32 v35, vcc, v1, v35, vcc
	s_waitcnt vmcnt(0)
	global_store_dwordx2 v[34:35], v[32:33], off
	s_branch .LBB46_2
.LBB46_67:
	s_endpgm
	.section	.rodata,"a",@progbits
	.p2align	6, 0x0
	.amdhsa_kernel _ZN9rocsolver6v33100L16stedc_reshuffleCIdPdS2_EEviT0_iilT1_iilPi
		.amdhsa_group_segment_fixed_size 0
		.amdhsa_private_segment_fixed_size 0
		.amdhsa_kernarg_size 320
		.amdhsa_user_sgpr_count 6
		.amdhsa_user_sgpr_private_segment_buffer 1
		.amdhsa_user_sgpr_dispatch_ptr 0
		.amdhsa_user_sgpr_queue_ptr 0
		.amdhsa_user_sgpr_kernarg_segment_ptr 1
		.amdhsa_user_sgpr_dispatch_id 0
		.amdhsa_user_sgpr_flat_scratch_init 0
		.amdhsa_user_sgpr_private_segment_size 0
		.amdhsa_uses_dynamic_stack 0
		.amdhsa_system_sgpr_private_segment_wavefront_offset 0
		.amdhsa_system_sgpr_workgroup_id_x 1
		.amdhsa_system_sgpr_workgroup_id_y 1
		.amdhsa_system_sgpr_workgroup_id_z 0
		.amdhsa_system_sgpr_workgroup_info 0
		.amdhsa_system_vgpr_workitem_id 0
		.amdhsa_next_free_vgpr 66
		.amdhsa_next_free_sgpr 57
		.amdhsa_reserve_vcc 1
		.amdhsa_reserve_flat_scratch 0
		.amdhsa_float_round_mode_32 0
		.amdhsa_float_round_mode_16_64 0
		.amdhsa_float_denorm_mode_32 3
		.amdhsa_float_denorm_mode_16_64 3
		.amdhsa_dx10_clamp 1
		.amdhsa_ieee_mode 1
		.amdhsa_fp16_overflow 0
		.amdhsa_exception_fp_ieee_invalid_op 0
		.amdhsa_exception_fp_denorm_src 0
		.amdhsa_exception_fp_ieee_div_zero 0
		.amdhsa_exception_fp_ieee_overflow 0
		.amdhsa_exception_fp_ieee_underflow 0
		.amdhsa_exception_fp_ieee_inexact 0
		.amdhsa_exception_int_div_zero 0
	.end_amdhsa_kernel
	.section	.text._ZN9rocsolver6v33100L16stedc_reshuffleCIdPdS2_EEviT0_iilT1_iilPi,"axG",@progbits,_ZN9rocsolver6v33100L16stedc_reshuffleCIdPdS2_EEviT0_iilT1_iilPi,comdat
.Lfunc_end46:
	.size	_ZN9rocsolver6v33100L16stedc_reshuffleCIdPdS2_EEviT0_iilT1_iilPi, .Lfunc_end46-_ZN9rocsolver6v33100L16stedc_reshuffleCIdPdS2_EEviT0_iilT1_iilPi
                                        ; -- End function
	.set _ZN9rocsolver6v33100L16stedc_reshuffleCIdPdS2_EEviT0_iilT1_iilPi.num_vgpr, 66
	.set _ZN9rocsolver6v33100L16stedc_reshuffleCIdPdS2_EEviT0_iilT1_iilPi.num_agpr, 0
	.set _ZN9rocsolver6v33100L16stedc_reshuffleCIdPdS2_EEviT0_iilT1_iilPi.numbered_sgpr, 57
	.set _ZN9rocsolver6v33100L16stedc_reshuffleCIdPdS2_EEviT0_iilT1_iilPi.num_named_barrier, 0
	.set _ZN9rocsolver6v33100L16stedc_reshuffleCIdPdS2_EEviT0_iilT1_iilPi.private_seg_size, 0
	.set _ZN9rocsolver6v33100L16stedc_reshuffleCIdPdS2_EEviT0_iilT1_iilPi.uses_vcc, 1
	.set _ZN9rocsolver6v33100L16stedc_reshuffleCIdPdS2_EEviT0_iilT1_iilPi.uses_flat_scratch, 0
	.set _ZN9rocsolver6v33100L16stedc_reshuffleCIdPdS2_EEviT0_iilT1_iilPi.has_dyn_sized_stack, 0
	.set _ZN9rocsolver6v33100L16stedc_reshuffleCIdPdS2_EEviT0_iilT1_iilPi.has_recursion, 0
	.set _ZN9rocsolver6v33100L16stedc_reshuffleCIdPdS2_EEviT0_iilT1_iilPi.has_indirect_call, 0
	.section	.AMDGPU.csdata,"",@progbits
; Kernel info:
; codeLenInByte = 2656
; TotalNumSgprs: 61
; NumVgprs: 66
; ScratchSize: 0
; MemoryBound: 0
; FloatMode: 240
; IeeeMode: 1
; LDSByteSize: 0 bytes/workgroup (compile time only)
; SGPRBlocks: 7
; VGPRBlocks: 16
; NumSGPRsForWavesPerEU: 61
; NumVGPRsForWavesPerEU: 66
; Occupancy: 3
; WaveLimiterHint : 1
; COMPUTE_PGM_RSRC2:SCRATCH_EN: 0
; COMPUTE_PGM_RSRC2:USER_SGPR: 6
; COMPUTE_PGM_RSRC2:TRAP_HANDLER: 0
; COMPUTE_PGM_RSRC2:TGID_X_EN: 1
; COMPUTE_PGM_RSRC2:TGID_Y_EN: 1
; COMPUTE_PGM_RSRC2:TGID_Z_EN: 0
; COMPUTE_PGM_RSRC2:TIDIG_COMP_CNT: 0
	.section	.text._ZN9rocsolver6v33100L30stedc_mergeValues_Solve_kernelIdEEviiPT_lS3_lS3_S3_PiS2_S2_S2_,"axG",@progbits,_ZN9rocsolver6v33100L30stedc_mergeValues_Solve_kernelIdEEviiPT_lS3_lS3_S3_PiS2_S2_S2_,comdat
	.globl	_ZN9rocsolver6v33100L30stedc_mergeValues_Solve_kernelIdEEviiPT_lS3_lS3_S3_PiS2_S2_S2_ ; -- Begin function _ZN9rocsolver6v33100L30stedc_mergeValues_Solve_kernelIdEEviiPT_lS3_lS3_S3_PiS2_S2_S2_
	.p2align	8
	.type	_ZN9rocsolver6v33100L30stedc_mergeValues_Solve_kernelIdEEviiPT_lS3_lS3_S3_PiS2_S2_S2_,@function
_ZN9rocsolver6v33100L30stedc_mergeValues_Solve_kernelIdEEviiPT_lS3_lS3_S3_PiS2_S2_S2_: ; @_ZN9rocsolver6v33100L30stedc_mergeValues_Solve_kernelIdEEviiPT_lS3_lS3_S3_PiS2_S2_S2_
; %bb.0:
	s_load_dword s1, s[4:5], 0x64
	s_load_dword s0, s[4:5], 0x4
	s_waitcnt lgkmcnt(0)
	s_and_b32 s1, s1, 0xffff
	s_mul_i32 s6, s6, s1
	v_add_u32_e32 v1, s6, v0
	v_cmp_gt_i32_e32 vcc, s0, v1
	s_and_saveexec_b64 s[2:3], vcc
	s_cbranch_execz .LBB47_194
; %bb.1:
	s_load_dwordx8 s[16:23], s[4:5], 0x28
	s_mul_i32 s2, s0, s7
	s_mul_i32 s4, s2, 13
	s_ashr_i32 s5, s4, 31
	s_ashr_i32 s1, s0, 31
	s_lshl_b64 s[4:5], s[4:5], 2
	s_waitcnt lgkmcnt(0)
	s_add_u32 s3, s20, s4
	s_mul_i32 s4, s0, 6
	s_addc_u32 s6, s21, s5
	s_ashr_i32 s5, s4, 31
	s_lshl_b64 s[4:5], s[4:5], 2
	v_ashrrev_i32_e32 v2, 31, v1
	s_add_u32 s3, s3, s4
	v_lshlrev_b64 v[3:4], 2, v[1:2]
	s_addc_u32 s6, s6, s5
	s_lshl_b64 s[4:5], s[0:1], 2
	s_add_u32 s4, s3, s4
	v_mov_b32_e32 v0, s6
	v_add_co_u32_e32 v5, vcc, s3, v3
	s_addc_u32 s5, s6, s5
	v_addc_co_u32_e32 v6, vcc, v0, v4, vcc
	v_mov_b32_e32 v0, s5
	v_add_co_u32_e32 v3, vcc, s4, v3
	v_addc_co_u32_e32 v4, vcc, v0, v4, vcc
	global_load_dword v12, v[5:6], off
	global_load_dword v22, v[3:4], off
	s_waitcnt vmcnt(1)
	v_sub_u32_e32 v0, v1, v12
	s_waitcnt vmcnt(0)
	v_cmp_lt_i32_e32 vcc, v0, v22
	s_and_b64 exec, exec, vcc
	s_cbranch_execz .LBB47_194
; %bb.2:
	s_mul_i32 s4, s2, 10
	s_ashr_i32 s5, s4, 31
	s_lshl_b64 s[24:25], s[4:5], 3
	s_add_u32 s3, s16, s24
	s_addc_u32 s6, s17, s25
	s_lshl_b32 s4, s0, 3
	s_ashr_i32 s5, s4, 31
	s_lshl_b64 s[26:27], s[4:5], 3
	s_add_u32 s7, s3, s26
	s_addc_u32 s6, s6, s27
	s_mul_i32 s4, s0, 0xffffffc8
	s_mul_hi_i32 s3, s0, 0xffffffc8
	s_add_u32 s33, s7, s4
	s_addc_u32 s40, s6, s3
	s_lshl_b64 s[4:5], s[0:1], 6
	s_add_u32 s1, s33, s4
	s_mul_i32 s2, s2, s0
	s_addc_u32 s3, s40, s5
	v_lshlrev_b64 v[4:5], 3, v[1:2]
	s_lshl_b32 s2, s2, 1
	v_mul_lo_u32 v1, v1, s0
	v_mov_b32_e32 v3, s3
	s_ashr_i32 s3, s2, 31
	v_add_co_u32_e32 v2, vcc, s1, v4
	s_lshl_b64 s[28:29], s[2:3], 3
	v_addc_co_u32_e32 v3, vcc, v3, v5, vcc
	s_add_u32 s1, s18, s28
	s_mul_i32 s2, s0, s0
	s_mov_b32 s3, 0
	global_load_dwordx2 v[6:7], v[2:3], off
	s_addc_u32 s4, s19, s29
	s_lshl_b64 s[30:31], s[2:3], 3
	v_ashrrev_i32_e32 v2, 31, v1
	s_add_u32 s0, s1, s30
	v_lshlrev_b64 v[36:37], 3, v[1:2]
	s_addc_u32 s1, s4, s31
	v_mov_b32_e32 v1, s1
	v_add_co_u32_e32 v8, vcc, s0, v36
	v_addc_co_u32_e32 v9, vcc, v1, v37, vcc
	v_ashrrev_i32_e32 v1, 31, v0
	v_lshlrev_b64 v[20:21], 3, v[0:1]
	v_ashrrev_i32_e32 v13, 31, v12
	v_add_co_u32_e32 v10, vcc, v8, v20
	v_addc_co_u32_e32 v11, vcc, v9, v21, vcc
	global_load_dwordx2 v[16:17], v[10:11], off
	v_lshlrev_b64 v[34:35], 3, v[12:13]
	v_add_u32_e32 v14, -1, v22
	v_mov_b32_e32 v1, s6
	v_add_co_u32_e64 v12, s[0:1], s7, v34
	v_cmp_ne_u32_e32 vcc, v0, v14
	v_addc_co_u32_e64 v13, s[0:1], v1, v35, s[0:1]
                                        ; implicit-def: $vgpr1_vgpr2
	s_and_saveexec_b64 s[0:1], vcc
	s_xor_b64 s[14:15], exec, s[0:1]
	s_cbranch_execz .LBB47_122
; %bb.3:
	global_load_dwordx2 v[38:39], v[10:11], off offset:8
	v_cmp_lt_i32_e32 vcc, 0, v0
	s_waitcnt vmcnt(0)
	v_add_f64 v[1:2], v[16:17], v[38:39]
	v_mul_f64 v[22:23], v[1:2], 0.5
	v_mov_b32_e32 v1, 0
	v_mov_b32_e32 v2, 0
	s_and_saveexec_b64 s[2:3], vcc
	s_cbranch_execz .LBB47_7
; %bb.4:
	v_mov_b32_e32 v1, 0
	v_mov_b32_e32 v19, v13
	;; [unrolled: 1-line block ×4, first 2 shown]
	s_mov_b64 s[4:5], 0
	v_mov_b32_e32 v18, v12
	v_mov_b32_e32 v24, v8
	v_mov_b32_e32 v3, v0
.LBB47_5:                               ; =>This Inner Loop Header: Depth=1
	global_load_dwordx2 v[26:27], v[24:25], off
	global_load_dwordx2 v[28:29], v[18:19], off
	v_add_u32_e32 v3, -1, v3
	s_waitcnt vmcnt(1)
	v_add_f64 v[26:27], v[26:27], -v[22:23]
	s_waitcnt vmcnt(0)
	v_div_scale_f64 v[30:31], s[0:1], v[26:27], v[26:27], v[28:29]
	v_cmp_eq_u32_e64 s[0:1], 0, v3
	s_or_b64 s[4:5], s[0:1], s[4:5]
	v_rcp_f64_e32 v[32:33], v[30:31]
	v_fma_f64 v[40:41], -v[30:31], v[32:33], 1.0
	v_fma_f64 v[32:33], v[32:33], v[40:41], v[32:33]
	v_div_scale_f64 v[40:41], vcc, v[28:29], v[26:27], v[28:29]
	v_fma_f64 v[42:43], -v[30:31], v[32:33], 1.0
	v_fma_f64 v[32:33], v[32:33], v[42:43], v[32:33]
	v_mul_f64 v[42:43], v[40:41], v[32:33]
	v_fma_f64 v[30:31], -v[30:31], v[42:43], v[40:41]
	v_div_fmas_f64 v[30:31], v[30:31], v[32:33], v[42:43]
	v_add_co_u32_e32 v24, vcc, 8, v24
	v_addc_co_u32_e32 v25, vcc, 0, v25, vcc
	v_add_co_u32_e32 v18, vcc, 8, v18
	v_addc_co_u32_e32 v19, vcc, 0, v19, vcc
	v_div_fixup_f64 v[26:27], v[30:31], v[26:27], v[28:29]
	v_fma_f64 v[1:2], v[28:29], v[26:27], v[1:2]
	s_andn2_b64 exec, exec, s[4:5]
	s_cbranch_execnz .LBB47_5
; %bb.6:
	s_or_b64 exec, exec, s[4:5]
.LBB47_7:
	s_or_b64 exec, exec, s[2:3]
	v_add_u32_e32 v18, 1, v0
	v_mov_b32_e32 v26, 0
	v_cmp_gt_i32_e32 vcc, v14, v18
	v_mov_b32_e32 v27, 0
	v_ashrrev_i32_e32 v15, 31, v14
	s_and_saveexec_b64 s[2:3], vcc
	s_cbranch_execz .LBB47_11
; %bb.8:
	v_mov_b32_e32 v3, s29
	v_add_co_u32_e32 v19, vcc, s28, v36
	v_lshlrev_b64 v[26:27], 3, v[14:15]
	v_addc_co_u32_e32 v3, vcc, v3, v37, vcc
	v_add_co_u32_e32 v19, vcc, v19, v26
	s_add_u32 s0, s18, s30
	v_addc_co_u32_e32 v3, vcc, v3, v27, vcc
	s_addc_u32 s1, s19, s31
	v_mov_b32_e32 v25, s1
	v_add_co_u32_e32 v24, vcc, s0, v19
	s_add_u32 s0, s26, s24
	v_addc_co_u32_e32 v25, vcc, v25, v3, vcc
	s_addc_u32 s1, s27, s25
	v_mov_b32_e32 v3, s1
	v_add_co_u32_e32 v19, vcc, s0, v34
	v_addc_co_u32_e32 v3, vcc, v3, v35, vcc
	v_add_co_u32_e32 v19, vcc, v19, v26
	v_addc_co_u32_e32 v3, vcc, v3, v27, vcc
	v_mov_b32_e32 v26, s17
	v_add_co_u32_e32 v28, vcc, s16, v19
	v_addc_co_u32_e32 v29, vcc, v26, v3, vcc
	v_mov_b32_e32 v26, 0
	v_mov_b32_e32 v27, 0
	s_mov_b64 s[4:5], 0
	v_mov_b32_e32 v3, v14
.LBB47_9:                               ; =>This Inner Loop Header: Depth=1
	global_load_dwordx2 v[30:31], v[24:25], off
	global_load_dwordx2 v[32:33], v[28:29], off
	v_add_u32_e32 v3, -1, v3
	s_waitcnt vmcnt(1)
	v_add_f64 v[30:31], v[30:31], -v[22:23]
	s_waitcnt vmcnt(0)
	v_div_scale_f64 v[40:41], s[0:1], v[30:31], v[30:31], v[32:33]
	v_cmp_le_i32_e64 s[0:1], v3, v18
	s_or_b64 s[4:5], s[0:1], s[4:5]
	v_rcp_f64_e32 v[42:43], v[40:41]
	v_fma_f64 v[44:45], -v[40:41], v[42:43], 1.0
	v_fma_f64 v[42:43], v[42:43], v[44:45], v[42:43]
	v_div_scale_f64 v[44:45], vcc, v[32:33], v[30:31], v[32:33]
	v_fma_f64 v[46:47], -v[40:41], v[42:43], 1.0
	v_fma_f64 v[42:43], v[42:43], v[46:47], v[42:43]
	v_mul_f64 v[46:47], v[44:45], v[42:43]
	v_fma_f64 v[40:41], -v[40:41], v[46:47], v[44:45]
	v_div_fmas_f64 v[40:41], v[40:41], v[42:43], v[46:47]
	v_add_co_u32_e32 v24, vcc, -8, v24
	v_addc_co_u32_e32 v25, vcc, -1, v25, vcc
	v_add_co_u32_e32 v28, vcc, -8, v28
	v_addc_co_u32_e32 v29, vcc, -1, v29, vcc
	v_div_fixup_f64 v[30:31], v[40:41], v[30:31], v[32:33]
	v_fma_f64 v[26:27], v[32:33], v[30:31], v[26:27]
	s_andn2_b64 exec, exec, s[4:5]
	s_cbranch_execnz .LBB47_9
; %bb.10:
	s_or_b64 exec, exec, s[4:5]
.LBB47_11:
	s_or_b64 exec, exec, s[2:3]
	v_add_co_u32_e32 v20, vcc, v12, v20
	v_addc_co_u32_e32 v21, vcc, v13, v21, vcc
	global_load_dwordx4 v[30:33], v[20:21], off
	v_and_b32_e32 v25, 0x7fffffff, v7
	v_mov_b32_e32 v24, v6
	v_div_scale_f64 v[28:29], s[0:1], v[24:25], v[24:25], 1.0
	v_add_f64 v[22:23], v[38:39], -v[16:17]
	v_div_scale_f64 v[24:25], vcc, 1.0, v[24:25], 1.0
	v_rcp_f64_e32 v[42:43], v[28:29]
	v_fma_f64 v[46:47], -v[28:29], v[42:43], 1.0
	v_fma_f64 v[42:43], v[42:43], v[46:47], v[42:43]
	v_fma_f64 v[46:47], -v[28:29], v[42:43], 1.0
	v_fma_f64 v[42:43], v[42:43], v[46:47], v[42:43]
	s_waitcnt vmcnt(0)
	v_mul_f64 v[30:31], v[30:31], v[30:31]
	v_fma_f64 v[40:41], v[32:33], v[32:33], -v[30:31]
	v_mul_f64 v[32:33], v[32:33], v[32:33]
	v_add_f64 v[40:41], v[40:41], v[40:41]
	v_div_scale_f64 v[44:45], s[0:1], v[22:23], v[22:23], v[40:41]
	v_rcp_f64_e32 v[48:49], v[44:45]
	v_fma_f64 v[50:51], -v[44:45], v[48:49], 1.0
	v_fma_f64 v[46:47], v[48:49], v[50:51], v[48:49]
	v_mul_f64 v[48:49], v[24:25], v[42:43]
	v_div_scale_f64 v[50:51], s[0:1], v[40:41], v[22:23], v[40:41]
	v_fma_f64 v[52:53], -v[44:45], v[46:47], 1.0
	v_fma_f64 v[24:25], -v[28:29], v[48:49], v[24:25]
	v_fma_f64 v[28:29], v[46:47], v[52:53], v[46:47]
	v_div_fmas_f64 v[24:25], v[24:25], v[42:43], v[48:49]
	s_mov_b64 vcc, s[0:1]
	v_mul_f64 v[42:43], v[50:51], v[28:29]
	v_fma_f64 v[44:45], -v[44:45], v[42:43], v[50:51]
	v_div_fixup_f64 v[24:25], v[24:25], |v[6:7]|, 1.0
	v_div_fmas_f64 v[42:43], v[44:45], v[28:29], v[42:43]
	v_add_f64 v[1:2], v[24:25], v[1:2]
	v_add_f64 v[28:29], v[1:2], v[26:27]
	v_div_fixup_f64 v[1:2], v[42:43], v[22:23], v[40:41]
	v_mul_f64 v[46:47], v[22:23], v[28:29]
                                        ; implicit-def: $vgpr42_vgpr43
                                        ; implicit-def: $vgpr40_vgpr41
	v_add_f64 v[1:2], v[28:29], v[1:2]
	v_cmp_lt_f64_e64 s[0:1], 0, v[1:2]
	v_cmp_nlt_f64_e64 s[2:3], 0, v[1:2]
                                        ; implicit-def: $vgpr1_vgpr2
	s_and_saveexec_b64 s[4:5], s[2:3]
	s_xor_b64 s[6:7], exec, s[4:5]
	s_cbranch_execz .LBB47_17
; %bb.12:
	v_mul_f64 v[0:1], v[22:23], v[32:33]
	v_add_f64 v[2:3], v[46:47], -v[30:31]
	s_mov_b32 s4, 0
	s_brev_b32 s5, 8
	v_mov_b32_e32 v19, 0x100
                                        ; implicit-def: $vgpr42_vgpr43
	v_mul_f64 v[26:27], v[0:1], 4.0
	v_add_f64 v[2:3], v[2:3], -v[32:33]
	v_mul_f64 v[26:27], v[28:29], v[26:27]
	v_fma_f64 v[26:27], v[2:3], v[2:3], v[26:27]
	v_cmp_lt_f64_e64 vcc, |v[26:27]|, s[4:5]
	v_cmp_ngt_f64_e64 s[4:5], 0, v[2:3]
	v_cndmask_b32_e32 v19, 0, v19, vcc
	v_ldexp_f64 v[26:27], |v[26:27]|, v19
	v_mov_b32_e32 v19, 0xffffff80
	v_cndmask_b32_e32 v19, 0, v19, vcc
	v_rsq_f64_e32 v[30:31], v[26:27]
	v_mul_f64 v[32:33], v[26:27], v[30:31]
	v_mul_f64 v[30:31], v[30:31], 0.5
	v_fma_f64 v[40:41], -v[30:31], v[32:33], 0.5
	v_fma_f64 v[32:33], v[32:33], v[40:41], v[32:33]
	v_fma_f64 v[30:31], v[30:31], v[40:41], v[30:31]
	v_fma_f64 v[40:41], -v[32:33], v[32:33], v[26:27]
	v_fma_f64 v[32:33], v[40:41], v[30:31], v[32:33]
	v_fma_f64 v[40:41], -v[32:33], v[32:33], v[26:27]
	v_fma_f64 v[30:31], v[40:41], v[30:31], v[32:33]
	v_mov_b32_e32 v32, 0x260
	v_cmp_class_f64_e32 vcc, v[26:27], v32
	v_ldexp_f64 v[30:31], v[30:31], v19
	v_cndmask_b32_e32 v27, v31, v27, vcc
	v_cndmask_b32_e32 v26, v30, v26, vcc
	s_and_saveexec_b64 s[8:9], s[4:5]
	s_xor_b64 s[4:5], exec, s[8:9]
	s_cbranch_execz .LBB47_14
; %bb.13:
	v_add_f64 v[0:1], v[2:3], v[26:27]
	v_add_f64 v[2:3], v[28:29], v[28:29]
	v_div_scale_f64 v[26:27], s[8:9], v[2:3], v[2:3], -v[0:1]
	v_div_scale_f64 v[32:33], vcc, -v[0:1], v[2:3], -v[0:1]
	v_rcp_f64_e32 v[28:29], v[26:27]
	v_fma_f64 v[30:31], -v[26:27], v[28:29], 1.0
	v_fma_f64 v[28:29], v[28:29], v[30:31], v[28:29]
	v_fma_f64 v[30:31], -v[26:27], v[28:29], 1.0
	v_fma_f64 v[28:29], v[28:29], v[30:31], v[28:29]
	v_mul_f64 v[30:31], v[32:33], v[28:29]
	v_fma_f64 v[26:27], -v[26:27], v[30:31], v[32:33]
	v_div_fmas_f64 v[26:27], v[26:27], v[28:29], v[30:31]
	v_div_fixup_f64 v[42:43], v[26:27], v[2:3], -v[0:1]
                                        ; implicit-def: $vgpr0_vgpr1
                                        ; implicit-def: $vgpr2_vgpr3
                                        ; implicit-def: $vgpr26_vgpr27
.LBB47_14:
	s_andn2_saveexec_b64 s[4:5], s[4:5]
	s_cbranch_execz .LBB47_16
; %bb.15:
	v_add_f64 v[0:1], v[0:1], v[0:1]
	v_add_f64 v[2:3], v[2:3], -v[26:27]
	v_div_scale_f64 v[26:27], s[8:9], v[2:3], v[2:3], v[0:1]
	v_div_scale_f64 v[32:33], vcc, v[0:1], v[2:3], v[0:1]
	v_rcp_f64_e32 v[28:29], v[26:27]
	v_fma_f64 v[30:31], -v[26:27], v[28:29], 1.0
	v_fma_f64 v[28:29], v[28:29], v[30:31], v[28:29]
	v_fma_f64 v[30:31], -v[26:27], v[28:29], 1.0
	v_fma_f64 v[28:29], v[28:29], v[30:31], v[28:29]
	v_mul_f64 v[30:31], v[32:33], v[28:29]
	v_fma_f64 v[26:27], -v[26:27], v[30:31], v[32:33]
	v_div_fmas_f64 v[26:27], v[26:27], v[28:29], v[30:31]
	v_div_fixup_f64 v[42:43], v[26:27], v[2:3], v[0:1]
.LBB47_16:
	s_or_b64 exec, exec, s[4:5]
	v_mul_f64 v[40:41], v[22:23], -0.5
	v_add_f64 v[1:2], v[38:39], v[42:43]
                                        ; implicit-def: $vgpr46_vgpr47
                                        ; implicit-def: $vgpr30_vgpr31
                                        ; implicit-def: $vgpr32_vgpr33
                                        ; implicit-def: $vgpr28_vgpr29
                                        ; implicit-def: $vgpr0
.LBB47_17:
	s_or_saveexec_b64 s[6:7], s[6:7]
	v_mov_b32_e32 v44, 0
	v_mov_b32_e32 v26, v38
	;; [unrolled: 1-line block ×4, first 2 shown]
	s_xor_b64 exec, exec, s[6:7]
	s_cbranch_execz .LBB47_23
; %bb.18:
	v_mul_f64 v[1:2], v[22:23], v[30:31]
	v_add_f64 v[18:19], v[46:47], v[30:31]
	s_mov_b32 s4, 0
	s_brev_b32 s5, 8
	v_mov_b32_e32 v3, 0x100
                                        ; implicit-def: $vgpr42_vgpr43
	v_mul_f64 v[26:27], v[1:2], -4.0
	v_add_f64 v[18:19], v[18:19], v[32:33]
	v_mul_f64 v[26:27], v[28:29], v[26:27]
	v_fma_f64 v[26:27], v[18:19], v[18:19], v[26:27]
	v_cmp_lt_f64_e64 vcc, |v[26:27]|, s[4:5]
	v_cmp_nlt_f64_e64 s[4:5], 0, v[18:19]
	v_cndmask_b32_e32 v3, 0, v3, vcc
	v_ldexp_f64 v[26:27], |v[26:27]|, v3
	v_mov_b32_e32 v3, 0xffffff80
	v_cndmask_b32_e32 v3, 0, v3, vcc
	v_rsq_f64_e32 v[30:31], v[26:27]
	v_mul_f64 v[32:33], v[26:27], v[30:31]
	v_mul_f64 v[30:31], v[30:31], 0.5
	v_fma_f64 v[40:41], -v[30:31], v[32:33], 0.5
	v_fma_f64 v[32:33], v[32:33], v[40:41], v[32:33]
	v_fma_f64 v[30:31], v[30:31], v[40:41], v[30:31]
	v_fma_f64 v[40:41], -v[32:33], v[32:33], v[26:27]
	v_fma_f64 v[32:33], v[40:41], v[30:31], v[32:33]
	v_fma_f64 v[40:41], -v[32:33], v[32:33], v[26:27]
	v_fma_f64 v[30:31], v[40:41], v[30:31], v[32:33]
	v_mov_b32_e32 v32, 0x260
	v_cmp_class_f64_e32 vcc, v[26:27], v32
	v_ldexp_f64 v[30:31], v[30:31], v3
	v_cndmask_b32_e32 v27, v31, v27, vcc
	v_cndmask_b32_e32 v26, v30, v26, vcc
	s_and_saveexec_b64 s[8:9], s[4:5]
	s_xor_b64 s[4:5], exec, s[8:9]
	s_cbranch_execz .LBB47_20
; %bb.19:
	v_add_f64 v[1:2], v[18:19], -v[26:27]
	v_add_f64 v[18:19], v[28:29], v[28:29]
	v_div_scale_f64 v[26:27], s[8:9], v[18:19], v[18:19], v[1:2]
	v_div_scale_f64 v[32:33], vcc, v[1:2], v[18:19], v[1:2]
	v_rcp_f64_e32 v[28:29], v[26:27]
	v_fma_f64 v[30:31], -v[26:27], v[28:29], 1.0
	v_fma_f64 v[28:29], v[28:29], v[30:31], v[28:29]
	v_fma_f64 v[30:31], -v[26:27], v[28:29], 1.0
	v_fma_f64 v[28:29], v[28:29], v[30:31], v[28:29]
	v_mul_f64 v[30:31], v[32:33], v[28:29]
	v_fma_f64 v[26:27], -v[26:27], v[30:31], v[32:33]
	v_div_fmas_f64 v[26:27], v[26:27], v[28:29], v[30:31]
	v_div_fixup_f64 v[42:43], v[26:27], v[18:19], v[1:2]
                                        ; implicit-def: $vgpr1_vgpr2
                                        ; implicit-def: $vgpr18_vgpr19
                                        ; implicit-def: $vgpr26_vgpr27
.LBB47_20:
	s_andn2_saveexec_b64 s[4:5], s[4:5]
	s_cbranch_execz .LBB47_22
; %bb.21:
	v_add_f64 v[1:2], v[1:2], v[1:2]
	v_add_f64 v[18:19], v[18:19], v[26:27]
	v_div_scale_f64 v[26:27], s[8:9], v[18:19], v[18:19], v[1:2]
	v_div_scale_f64 v[32:33], vcc, v[1:2], v[18:19], v[1:2]
	v_rcp_f64_e32 v[28:29], v[26:27]
	v_fma_f64 v[30:31], -v[26:27], v[28:29], 1.0
	v_fma_f64 v[28:29], v[28:29], v[30:31], v[28:29]
	v_fma_f64 v[30:31], -v[26:27], v[28:29], 1.0
	v_fma_f64 v[28:29], v[28:29], v[30:31], v[28:29]
	v_mul_f64 v[30:31], v[32:33], v[28:29]
	v_fma_f64 v[26:27], -v[26:27], v[30:31], v[32:33]
	v_div_fmas_f64 v[26:27], v[26:27], v[28:29], v[30:31]
	v_div_fixup_f64 v[42:43], v[26:27], v[18:19], v[1:2]
.LBB47_22:
	s_or_b64 exec, exec, s[4:5]
	v_mul_f64 v[44:45], v[22:23], 0.5
	v_add_f64 v[1:2], v[16:17], v[42:43]
	v_mov_b32_e32 v40, 0
	v_mov_b32_e32 v27, v17
	;; [unrolled: 1-line block ×5, first 2 shown]
.LBB47_23:
	s_or_b64 exec, exec, s[6:7]
	v_cmp_lt_i32_e32 vcc, -1, v18
	s_and_saveexec_b64 s[4:5], vcc
	s_cbranch_execz .LBB47_26
; %bb.24:
	v_mov_b32_e32 v29, v9
	v_add_u32_e32 v0, 1, v18
	s_mov_b64 s[6:7], 0
	v_mov_b32_e32 v28, v8
.LBB47_25:                              ; =>This Inner Loop Header: Depth=1
	global_load_dwordx2 v[30:31], v[28:29], off
	v_add_u32_e32 v0, -1, v0
	v_cmp_eq_u32_e32 vcc, 0, v0
	s_or_b64 s[6:7], vcc, s[6:7]
	s_waitcnt vmcnt(0)
	v_add_f64 v[30:31], v[30:31], -v[26:27]
	global_store_dwordx2 v[28:29], v[30:31], off
	v_add_co_u32_e32 v28, vcc, 8, v28
	v_addc_co_u32_e32 v29, vcc, 0, v29, vcc
	s_andn2_b64 exec, exec, s[6:7]
	s_cbranch_execnz .LBB47_25
.LBB47_26:
	s_or_b64 exec, exec, s[4:5]
	v_cmp_le_i32_e64 s[8:9], v14, v18
	v_cmp_gt_i32_e64 s[4:5], v14, v18
	s_and_saveexec_b64 s[6:7], s[4:5]
	s_cbranch_execz .LBB47_29
; %bb.27:
	v_mov_b32_e32 v0, s29
	v_add_co_u32_e32 v3, vcc, s28, v36
	v_lshlrev_b64 v[28:29], 3, v[14:15]
	v_addc_co_u32_e32 v0, vcc, v0, v37, vcc
	v_add_co_u32_e32 v3, vcc, v3, v28
	s_add_u32 s10, s18, s30
	v_addc_co_u32_e32 v0, vcc, v0, v29, vcc
	s_addc_u32 s11, s19, s31
	v_mov_b32_e32 v19, s11
	v_add_co_u32_e32 v28, vcc, s10, v3
	v_addc_co_u32_e32 v29, vcc, v19, v0, vcc
	s_mov_b64 s[10:11], 0
	v_mov_b32_e32 v0, v14
.LBB47_28:                              ; =>This Inner Loop Header: Depth=1
	global_load_dwordx2 v[30:31], v[28:29], off
	v_add_u32_e32 v0, -1, v0
	v_cmp_le_i32_e32 vcc, v0, v18
	s_or_b64 s[10:11], vcc, s[10:11]
	s_waitcnt vmcnt(0)
	v_add_f64 v[30:31], v[30:31], -v[26:27]
	global_store_dwordx2 v[28:29], v[30:31], off
	v_add_co_u32_e32 v28, vcc, -8, v28
	v_addc_co_u32_e32 v29, vcc, -1, v29, vcc
	s_andn2_b64 exec, exec, s[10:11]
	s_cbranch_execnz .LBB47_28
.LBB47_29:
	s_or_b64 exec, exec, s[6:7]
	v_ashrrev_i32_e32 v19, 31, v18
	v_lshlrev_b64 v[30:31], 3, v[18:19]
	v_mov_b32_e32 v48, 0
	v_add_co_u32_e32 v28, vcc, v8, v30
	v_addc_co_u32_e32 v29, vcc, v9, v31, vcc
	global_load_dwordx2 v[32:33], v[28:29], off
	v_mov_b32_e32 v46, 0
	v_mov_b32_e32 v54, 0
	;; [unrolled: 1-line block ×5, first 2 shown]
	v_cmp_lt_i32_e64 s[6:7], 0, v18
	s_waitcnt vmcnt(0)
	v_add_f64 v[32:33], v[32:33], -v[42:43]
	global_store_dwordx2 v[28:29], v[32:33], off
	s_and_saveexec_b64 s[10:11], s[6:7]
	s_cbranch_execz .LBB47_33
; %bb.30:
	v_mov_b32_e32 v48, 0
	v_mov_b32_e32 v33, v13
	;; [unrolled: 1-line block ×6, first 2 shown]
	s_mov_b64 s[12:13], 0
	v_mov_b32_e32 v32, v12
	v_mov_b32_e32 v50, v8
	;; [unrolled: 1-line block ×5, first 2 shown]
.LBB47_31:                              ; =>This Inner Loop Header: Depth=1
	global_load_dwordx2 v[52:53], v[50:51], off
	v_add_u32_e32 v0, -1, v0
	s_waitcnt vmcnt(0)
	v_add_f64 v[52:53], v[52:53], -v[42:43]
	global_store_dwordx2 v[50:51], v[52:53], off
	global_load_dwordx2 v[56:57], v[32:33], off
	s_waitcnt vmcnt(0)
	v_div_scale_f64 v[58:59], s[20:21], v[52:53], v[52:53], v[56:57]
	v_rcp_f64_e32 v[60:61], v[58:59]
	v_fma_f64 v[62:63], -v[58:59], v[60:61], 1.0
	v_fma_f64 v[60:61], v[60:61], v[62:63], v[60:61]
	v_div_scale_f64 v[62:63], vcc, v[56:57], v[52:53], v[56:57]
	v_fma_f64 v[64:65], -v[58:59], v[60:61], 1.0
	v_fma_f64 v[60:61], v[60:61], v[64:65], v[60:61]
	v_mul_f64 v[64:65], v[62:63], v[60:61]
	v_fma_f64 v[58:59], -v[58:59], v[64:65], v[62:63]
	v_div_fmas_f64 v[58:59], v[58:59], v[60:61], v[64:65]
	v_cmp_eq_u32_e32 vcc, 0, v0
	s_or_b64 s[12:13], vcc, s[12:13]
	v_add_co_u32_e32 v50, vcc, 8, v50
	v_addc_co_u32_e32 v51, vcc, 0, v51, vcc
	v_add_co_u32_e32 v32, vcc, 8, v32
	v_addc_co_u32_e32 v33, vcc, 0, v33, vcc
	v_div_fixup_f64 v[52:53], v[58:59], v[52:53], v[56:57]
	v_fma_f64 v[54:55], v[56:57], v[52:53], v[54:55]
	v_fma_f64 v[48:49], v[52:53], v[52:53], v[48:49]
	v_add_f64 v[46:47], v[46:47], v[54:55]
	s_andn2_b64 exec, exec, s[12:13]
	s_cbranch_execnz .LBB47_31
; %bb.32:
	s_or_b64 exec, exec, s[12:13]
	v_and_b32_e32 v47, 0x7fffffff, v47
.LBB47_33:
	s_or_b64 exec, exec, s[10:11]
	v_mov_b32_e32 v52, 0
	v_mov_b32_e32 v58, 0
	;; [unrolled: 1-line block ×4, first 2 shown]
	s_and_saveexec_b64 s[10:11], s[4:5]
	s_cbranch_execz .LBB47_37
; %bb.34:
	v_mov_b32_e32 v0, s29
	v_add_co_u32_e32 v3, vcc, s28, v36
	v_lshlrev_b64 v[50:51], 3, v[14:15]
	v_addc_co_u32_e32 v0, vcc, v0, v37, vcc
	v_add_co_u32_e32 v3, vcc, v3, v50
	s_add_u32 s12, s18, s30
	v_addc_co_u32_e32 v0, vcc, v0, v51, vcc
	s_addc_u32 s13, s19, s31
	v_mov_b32_e32 v19, s13
	v_add_co_u32_e32 v32, vcc, s12, v3
	s_add_u32 s12, s26, s24
	v_addc_co_u32_e32 v33, vcc, v19, v0, vcc
	s_addc_u32 s13, s27, s25
	v_mov_b32_e32 v0, s13
	v_add_co_u32_e32 v3, vcc, s12, v34
	v_addc_co_u32_e32 v0, vcc, v0, v35, vcc
	v_add_co_u32_e32 v3, vcc, v3, v50
	v_addc_co_u32_e32 v0, vcc, v0, v51, vcc
	v_mov_b32_e32 v19, s17
	v_add_co_u32_e32 v50, vcc, s16, v3
	v_mov_b32_e32 v52, 0
	v_mov_b32_e32 v58, 0
	v_addc_co_u32_e32 v51, vcc, v19, v0, vcc
	v_mov_b32_e32 v53, 0
	s_mov_b64 s[12:13], 0
	v_mov_b32_e32 v59, 0
	v_mov_b32_e32 v0, v14
.LBB47_35:                              ; =>This Inner Loop Header: Depth=1
	global_load_dwordx2 v[56:57], v[32:33], off
	v_add_u32_e32 v0, -1, v0
	s_waitcnt vmcnt(0)
	v_add_f64 v[56:57], v[56:57], -v[42:43]
	global_store_dwordx2 v[32:33], v[56:57], off
	global_load_dwordx2 v[60:61], v[50:51], off
	s_waitcnt vmcnt(0)
	v_div_scale_f64 v[62:63], s[20:21], v[56:57], v[56:57], v[60:61]
	v_rcp_f64_e32 v[64:65], v[62:63]
	v_fma_f64 v[66:67], -v[62:63], v[64:65], 1.0
	v_fma_f64 v[64:65], v[64:65], v[66:67], v[64:65]
	v_div_scale_f64 v[66:67], vcc, v[60:61], v[56:57], v[60:61]
	v_fma_f64 v[68:69], -v[62:63], v[64:65], 1.0
	v_fma_f64 v[64:65], v[64:65], v[68:69], v[64:65]
	v_mul_f64 v[68:69], v[66:67], v[64:65]
	v_fma_f64 v[62:63], -v[62:63], v[68:69], v[66:67]
	v_div_fmas_f64 v[62:63], v[62:63], v[64:65], v[68:69]
	v_cmp_le_i32_e32 vcc, v0, v18
	s_or_b64 s[12:13], vcc, s[12:13]
	v_add_co_u32_e32 v32, vcc, -8, v32
	v_addc_co_u32_e32 v33, vcc, -1, v33, vcc
	v_add_co_u32_e32 v50, vcc, -8, v50
	v_addc_co_u32_e32 v51, vcc, -1, v51, vcc
	v_div_fixup_f64 v[56:57], v[62:63], v[56:57], v[60:61]
	v_fma_f64 v[58:59], v[60:61], v[56:57], v[58:59]
	v_fma_f64 v[52:53], v[56:57], v[56:57], v[52:53]
	v_add_f64 v[46:47], v[46:47], v[58:59]
	s_andn2_b64 exec, exec, s[12:13]
	s_cbranch_execnz .LBB47_35
; %bb.36:
	s_or_b64 exec, exec, s[12:13]
.LBB47_37:
	s_or_b64 exec, exec, s[10:11]
	v_add_co_u32_e32 v30, vcc, v12, v30
	v_addc_co_u32_e32 v31, vcc, v13, v31, vcc
	global_load_dwordx2 v[50:51], v[28:29], off
	global_load_dwordx2 v[60:61], v[30:31], off
	s_waitcnt vmcnt(0)
	v_div_scale_f64 v[32:33], s[10:11], v[50:51], v[50:51], v[60:61]
	s_mov_b32 s10, 0
	s_mov_b32 s11, 0x40200000
	v_rcp_f64_e32 v[56:57], v[32:33]
	v_fma_f64 v[62:63], -v[32:33], v[56:57], 1.0
	v_fma_f64 v[56:57], v[56:57], v[62:63], v[56:57]
	v_div_scale_f64 v[62:63], vcc, v[60:61], v[50:51], v[60:61]
	v_fma_f64 v[64:65], -v[32:33], v[56:57], 1.0
	v_fma_f64 v[56:57], v[56:57], v[64:65], v[56:57]
	v_mul_f64 v[64:65], v[62:63], v[56:57]
	v_fma_f64 v[32:33], -v[32:33], v[64:65], v[62:63]
	v_add_f64 v[62:63], v[58:59], -v[54:55]
	v_add_f64 v[54:55], v[24:25], v[54:55]
	v_div_fmas_f64 v[32:33], v[32:33], v[56:57], v[64:65]
	v_add_f64 v[56:57], v[48:49], v[52:53]
	v_add_f64 v[54:55], v[54:55], v[58:59]
	v_div_fixup_f64 v[64:65], v[32:33], v[50:51], v[60:61]
	v_add_f64 v[32:33], v[24:25], v[24:25]
	v_mul_f64 v[48:49], v[60:61], v[64:65]
	v_fma_f64 v[62:63], v[62:63], s[10:11], v[32:33]
	s_mov_b32 s10, 0
	s_mov_b32 s11, 0x40080000
	v_fma_f64 v[52:53], v[64:65], v[64:65], v[56:57]
	v_fma_f64 v[48:49], |v[48:49]|, s[10:11], v[62:63]
	v_fma_f64 v[48:49], |v[42:43]|, v[52:53], v[48:49]
	v_add_f64 v[46:47], v[46:47], v[48:49]
	v_fma_f64 v[48:49], v[60:61], v[64:65], v[54:55]
	v_mul_f64 v[46:47], s[22:23], v[46:47]
	v_cmp_nle_f64_e64 s[10:11], |v[48:49]|, v[46:47]
	s_and_saveexec_b64 s[20:21], s[10:11]
	s_cbranch_execz .LBB47_121
; %bb.38:
	global_load_dwordx4 v[0:3], v[10:11], off
                                        ; implicit-def: $vgpr58_vgpr59
	s_and_saveexec_b64 s[10:11], s[2:3]
	s_xor_b64 s[10:11], exec, s[10:11]
	s_cbranch_execz .LBB47_40
; %bb.39:
	global_load_dwordx2 v[46:47], v[20:21], off offset:8
	s_waitcnt vmcnt(0)
	v_mul_f64 v[54:55], v[22:23], v[46:47]
	v_mul_f64 v[46:47], v[46:47], v[54:55]
	v_div_scale_f64 v[54:55], s[12:13], v[2:3], v[2:3], v[46:47]
	v_rcp_f64_e32 v[58:59], v[54:55]
	v_fma_f64 v[60:61], -v[54:55], v[58:59], 1.0
	v_fma_f64 v[58:59], v[58:59], v[60:61], v[58:59]
	v_div_scale_f64 v[60:61], vcc, v[46:47], v[2:3], v[46:47]
	v_fma_f64 v[62:63], -v[54:55], v[58:59], 1.0
	v_fma_f64 v[58:59], v[58:59], v[62:63], v[58:59]
	v_mul_f64 v[62:63], v[60:61], v[58:59]
	v_fma_f64 v[54:55], -v[54:55], v[62:63], v[60:61]
	v_div_fmas_f64 v[54:55], v[54:55], v[58:59], v[62:63]
	v_div_fixup_f64 v[46:47], v[54:55], v[2:3], v[46:47]
	v_div_scale_f64 v[54:55], s[12:13], v[2:3], v[2:3], v[46:47]
	v_div_scale_f64 v[62:63], vcc, v[46:47], v[2:3], v[46:47]
	v_rcp_f64_e32 v[58:59], v[54:55]
	v_fma_f64 v[60:61], -v[54:55], v[58:59], 1.0
	v_fma_f64 v[58:59], v[58:59], v[60:61], v[58:59]
	v_fma_f64 v[60:61], -v[54:55], v[58:59], 1.0
	v_fma_f64 v[58:59], v[58:59], v[60:61], v[58:59]
	v_mul_f64 v[60:61], v[62:63], v[58:59]
	v_fma_f64 v[54:55], -v[54:55], v[60:61], v[62:63]
	v_div_fmas_f64 v[54:55], v[54:55], v[58:59], v[60:61]
	v_fma_f64 v[58:59], -v[52:53], v[0:1], v[48:49]
	v_div_fixup_f64 v[46:47], v[54:55], v[2:3], v[46:47]
	v_add_f64 v[58:59], v[58:59], -v[46:47]
.LBB47_40:
	s_or_saveexec_b64 s[10:11], s[10:11]
	v_add_f64 v[16:17], v[16:17], -v[38:39]
	s_xor_b64 exec, exec, s[10:11]
	s_cbranch_execz .LBB47_42
; %bb.41:
	global_load_dwordx2 v[38:39], v[20:21], off
	s_waitcnt vmcnt(0)
	v_mul_f64 v[46:47], v[16:17], v[38:39]
	v_mul_f64 v[38:39], v[38:39], v[46:47]
	v_div_scale_f64 v[46:47], s[12:13], v[0:1], v[0:1], v[38:39]
	v_rcp_f64_e32 v[54:55], v[46:47]
	v_fma_f64 v[58:59], -v[46:47], v[54:55], 1.0
	v_fma_f64 v[54:55], v[54:55], v[58:59], v[54:55]
	v_div_scale_f64 v[58:59], vcc, v[38:39], v[0:1], v[38:39]
	v_fma_f64 v[60:61], -v[46:47], v[54:55], 1.0
	v_fma_f64 v[54:55], v[54:55], v[60:61], v[54:55]
	v_mul_f64 v[60:61], v[58:59], v[54:55]
	v_fma_f64 v[46:47], -v[46:47], v[60:61], v[58:59]
	v_div_fmas_f64 v[46:47], v[46:47], v[54:55], v[60:61]
	v_div_fixup_f64 v[38:39], v[46:47], v[0:1], v[38:39]
	v_div_scale_f64 v[46:47], s[12:13], v[0:1], v[0:1], v[38:39]
	v_div_scale_f64 v[60:61], vcc, v[38:39], v[0:1], v[38:39]
	v_rcp_f64_e32 v[54:55], v[46:47]
	v_fma_f64 v[58:59], -v[46:47], v[54:55], 1.0
	v_fma_f64 v[54:55], v[54:55], v[58:59], v[54:55]
	v_fma_f64 v[58:59], -v[46:47], v[54:55], 1.0
	v_fma_f64 v[54:55], v[54:55], v[58:59], v[54:55]
	v_mul_f64 v[58:59], v[60:61], v[54:55]
	v_fma_f64 v[46:47], -v[46:47], v[58:59], v[60:61]
	v_div_fmas_f64 v[46:47], v[46:47], v[54:55], v[58:59]
	v_fma_f64 v[54:55], -v[52:53], v[2:3], v[48:49]
	v_div_fixup_f64 v[38:39], v[46:47], v[0:1], v[38:39]
	v_add_f64 v[58:59], v[54:55], -v[38:39]
.LBB47_42:
	s_or_b64 exec, exec, s[10:11]
	s_waitcnt vmcnt(0)
	v_mul_f64 v[38:39], v[0:1], v[2:3]
	v_add_f64 v[46:47], v[0:1], v[2:3]
	v_cmp_neq_f64_e32 vcc, 0, v[58:59]
	v_mul_f64 v[54:55], v[52:53], v[38:39]
	v_mul_f64 v[38:39], v[48:49], v[38:39]
	v_fma_f64 v[54:55], v[48:49], v[46:47], -v[54:55]
                                        ; implicit-def: $vgpr46_vgpr47
	s_and_saveexec_b64 s[10:11], vcc
	s_xor_b64 s[12:13], exec, s[10:11]
	s_cbranch_execz .LBB47_48
; %bb.43:
	v_mul_f64 v[0:1], v[38:39], -4.0
	s_mov_b32 s10, 0
	s_brev_b32 s11, 8
	v_mov_b32_e32 v2, 0x100
	v_mov_b32_e32 v19, 0xffffff80
	v_mul_f64 v[0:1], v[0:1], v[58:59]
	v_fma_f64 v[0:1], v[54:55], v[54:55], v[0:1]
	v_cmp_lt_f64_e64 vcc, |v[0:1]|, s[10:11]
	v_cmp_ge_f64_e64 s[10:11], 0, v[54:55]
	v_cndmask_b32_e32 v2, 0, v2, vcc
	v_ldexp_f64 v[0:1], |v[0:1]|, v2
	v_cndmask_b32_e32 v19, 0, v19, vcc
	v_rsq_f64_e32 v[2:3], v[0:1]
	v_mul_f64 v[46:47], v[0:1], v[2:3]
	v_mul_f64 v[2:3], v[2:3], 0.5
	v_fma_f64 v[56:57], -v[2:3], v[46:47], 0.5
	v_fma_f64 v[46:47], v[46:47], v[56:57], v[46:47]
	v_fma_f64 v[2:3], v[2:3], v[56:57], v[2:3]
	v_fma_f64 v[56:57], -v[46:47], v[46:47], v[0:1]
	v_fma_f64 v[46:47], v[56:57], v[2:3], v[46:47]
	v_fma_f64 v[56:57], -v[46:47], v[46:47], v[0:1]
	v_fma_f64 v[2:3], v[56:57], v[2:3], v[46:47]
	v_mov_b32_e32 v46, 0x260
	v_cmp_class_f64_e32 vcc, v[0:1], v46
                                        ; implicit-def: $vgpr46_vgpr47
	v_ldexp_f64 v[2:3], v[2:3], v19
	v_cndmask_b32_e32 v1, v3, v1, vcc
	v_cndmask_b32_e32 v0, v2, v0, vcc
	s_and_saveexec_b64 s[34:35], s[10:11]
	s_xor_b64 s[10:11], exec, s[34:35]
	s_cbranch_execz .LBB47_45
; %bb.44:
	v_add_f64 v[0:1], v[54:55], -v[0:1]
	v_add_f64 v[2:3], v[58:59], v[58:59]
	v_div_scale_f64 v[38:39], s[34:35], v[2:3], v[2:3], v[0:1]
	v_div_scale_f64 v[56:57], vcc, v[0:1], v[2:3], v[0:1]
	v_rcp_f64_e32 v[46:47], v[38:39]
	v_fma_f64 v[54:55], -v[38:39], v[46:47], 1.0
	v_fma_f64 v[46:47], v[46:47], v[54:55], v[46:47]
	v_fma_f64 v[54:55], -v[38:39], v[46:47], 1.0
	v_fma_f64 v[46:47], v[46:47], v[54:55], v[46:47]
	v_mul_f64 v[54:55], v[56:57], v[46:47]
	v_fma_f64 v[38:39], -v[38:39], v[54:55], v[56:57]
	v_div_fmas_f64 v[38:39], v[38:39], v[46:47], v[54:55]
                                        ; implicit-def: $vgpr54_vgpr55
	v_div_fixup_f64 v[46:47], v[38:39], v[2:3], v[0:1]
                                        ; implicit-def: $vgpr38_vgpr39
                                        ; implicit-def: $vgpr0_vgpr1
.LBB47_45:
	s_andn2_saveexec_b64 s[10:11], s[10:11]
	s_cbranch_execz .LBB47_47
; %bb.46:
	v_add_f64 v[2:3], v[38:39], v[38:39]
	v_add_f64 v[0:1], v[54:55], v[0:1]
	v_div_scale_f64 v[38:39], s[34:35], v[0:1], v[0:1], v[2:3]
	v_div_scale_f64 v[56:57], vcc, v[2:3], v[0:1], v[2:3]
	v_rcp_f64_e32 v[46:47], v[38:39]
	v_fma_f64 v[54:55], -v[38:39], v[46:47], 1.0
	v_fma_f64 v[46:47], v[46:47], v[54:55], v[46:47]
	v_fma_f64 v[54:55], -v[38:39], v[46:47], 1.0
	v_fma_f64 v[46:47], v[46:47], v[54:55], v[46:47]
	v_mul_f64 v[54:55], v[56:57], v[46:47]
	v_fma_f64 v[38:39], -v[38:39], v[54:55], v[56:57]
	v_div_fmas_f64 v[38:39], v[38:39], v[46:47], v[54:55]
	v_div_fixup_f64 v[46:47], v[38:39], v[0:1], v[2:3]
.LBB47_47:
	s_or_b64 exec, exec, s[10:11]
                                        ; implicit-def: $vgpr54_vgpr55
                                        ; implicit-def: $vgpr38_vgpr39
                                        ; implicit-def: $vgpr2_vgpr3
                                        ; implicit-def: $vgpr56_vgpr57
.LBB47_48:
	s_andn2_saveexec_b64 s[10:11], s[12:13]
	s_cbranch_execz .LBB47_56
; %bb.49:
	v_cmp_eq_f64_e32 vcc, 0, v[54:55]
	s_and_saveexec_b64 s[12:13], vcc
	s_cbranch_execz .LBB47_55
; %bb.50:
                                        ; implicit-def: $vgpr54_vgpr55
	s_and_saveexec_b64 s[34:35], s[2:3]
	s_xor_b64 s[34:35], exec, s[34:35]
	s_cbranch_execz .LBB47_52
; %bb.51:
	global_load_dwordx2 v[2:3], v[20:21], off offset:8
	v_mul_f64 v[0:1], v[0:1], v[0:1]
	s_waitcnt vmcnt(0)
	v_mul_f64 v[2:3], v[2:3], v[2:3]
	v_fma_f64 v[54:55], v[56:57], v[0:1], v[2:3]
                                        ; implicit-def: $vgpr2_vgpr3
                                        ; implicit-def: $vgpr56_vgpr57
.LBB47_52:
	s_andn2_saveexec_b64 s[34:35], s[34:35]
	s_cbranch_execz .LBB47_54
; %bb.53:
	global_load_dwordx2 v[0:1], v[20:21], off
	v_mul_f64 v[2:3], v[2:3], v[2:3]
	s_waitcnt vmcnt(0)
	v_mul_f64 v[0:1], v[0:1], v[0:1]
	v_fma_f64 v[54:55], v[56:57], v[2:3], v[0:1]
.LBB47_54:
	s_or_b64 exec, exec, s[34:35]
.LBB47_55:
	s_or_b64 exec, exec, s[12:13]
	v_div_scale_f64 v[0:1], s[12:13], v[54:55], v[54:55], v[38:39]
	v_div_scale_f64 v[56:57], vcc, v[38:39], v[54:55], v[38:39]
	v_rcp_f64_e32 v[2:3], v[0:1]
	v_fma_f64 v[46:47], -v[0:1], v[2:3], 1.0
	v_fma_f64 v[2:3], v[2:3], v[46:47], v[2:3]
	v_fma_f64 v[46:47], -v[0:1], v[2:3], 1.0
	v_fma_f64 v[2:3], v[2:3], v[46:47], v[2:3]
	v_mul_f64 v[46:47], v[56:57], v[2:3]
	v_fma_f64 v[0:1], -v[0:1], v[46:47], v[56:57]
	v_div_fmas_f64 v[0:1], v[0:1], v[2:3], v[46:47]
	v_div_fixup_f64 v[46:47], v[0:1], v[54:55], v[38:39]
.LBB47_56:
	s_or_b64 exec, exec, s[10:11]
	v_mul_f64 v[0:1], v[48:49], v[46:47]
	v_cmp_le_f64_e32 vcc, 0, v[0:1]
	s_and_saveexec_b64 s[10:11], vcc
	s_cbranch_execz .LBB47_58
; %bb.57:
	v_div_scale_f64 v[0:1], s[12:13], v[52:53], v[52:53], -v[48:49]
	v_div_scale_f64 v[46:47], vcc, -v[48:49], v[52:53], -v[48:49]
	v_rcp_f64_e32 v[2:3], v[0:1]
	v_fma_f64 v[38:39], -v[0:1], v[2:3], 1.0
	v_fma_f64 v[2:3], v[2:3], v[38:39], v[2:3]
	v_fma_f64 v[38:39], -v[0:1], v[2:3], 1.0
	v_fma_f64 v[2:3], v[2:3], v[38:39], v[2:3]
	v_mul_f64 v[38:39], v[46:47], v[2:3]
	v_fma_f64 v[0:1], -v[0:1], v[38:39], v[46:47]
	v_div_fmas_f64 v[0:1], v[0:1], v[2:3], v[38:39]
	v_div_fixup_f64 v[46:47], v[0:1], v[52:53], -v[48:49]
.LBB47_58:
	s_or_b64 exec, exec, s[10:11]
	v_cmp_lt_f64_e32 vcc, v[40:41], v[42:43]
	v_cmp_lt_f64_e64 s[10:11], 0, v[48:49]
	v_cmp_lt_f64_e64 s[12:13], v[42:43], v[44:45]
	v_add_f64 v[0:1], v[42:43], v[46:47]
	v_cndmask_b32_e32 v2, v40, v42, vcc
	v_cndmask_b32_e32 v3, v41, v43, vcc
	v_cmp_nge_f64_e32 vcc, 0, v[48:49]
	s_and_b64 s[10:11], s[10:11], s[12:13]
	v_cndmask_b32_e64 v39, v45, v43, s[10:11]
	v_cndmask_b32_e64 v38, v44, v42, s[10:11]
	v_cndmask_b32_e32 v41, v3, v41, vcc
	v_cndmask_b32_e32 v40, v2, v40, vcc
	v_cmp_gt_f64_e32 vcc, v[0:1], v[38:39]
	v_cmp_lt_f64_e64 s[10:11], v[0:1], v[40:41]
	s_or_b64 s[12:13], vcc, s[10:11]
	s_and_saveexec_b64 s[10:11], s[12:13]
	s_cbranch_execz .LBB47_64
; %bb.59:
	v_cmp_ngt_f64_e32 vcc, 0, v[48:49]
                                        ; implicit-def: $vgpr46_vgpr47
	s_and_saveexec_b64 s[12:13], vcc
	s_xor_b64 s[12:13], exec, s[12:13]
	s_cbranch_execz .LBB47_61
; %bb.60:
	v_add_f64 v[0:1], v[40:41], -v[42:43]
	v_mul_f64 v[46:47], v[0:1], 0.5
.LBB47_61:
	s_andn2_saveexec_b64 s[12:13], s[12:13]
	s_cbranch_execz .LBB47_63
; %bb.62:
	v_add_f64 v[0:1], v[38:39], -v[42:43]
	v_mul_f64 v[46:47], v[0:1], 0.5
.LBB47_63:
	s_or_b64 exec, exec, s[12:13]
.LBB47_64:
	s_or_b64 exec, exec, s[10:11]
	v_add_f64 v[50:51], v[50:51], -v[46:47]
	v_mov_b32_e32 v44, 0
	v_mov_b32_e32 v0, 0
	;; [unrolled: 1-line block ×6, first 2 shown]
	global_store_dwordx2 v[28:29], v[50:51], off
	s_and_saveexec_b64 s[10:11], s[6:7]
	s_cbranch_execz .LBB47_68
; %bb.65:
	v_mov_b32_e32 v44, 0
	v_mov_b32_e32 v51, v13
	;; [unrolled: 1-line block ×6, first 2 shown]
	s_mov_b64 s[12:13], 0
	v_mov_b32_e32 v50, v12
	v_mov_b32_e32 v52, v8
	;; [unrolled: 1-line block ×5, first 2 shown]
.LBB47_66:                              ; =>This Inner Loop Header: Depth=1
	global_load_dwordx2 v[54:55], v[52:53], off
	v_add_u32_e32 v19, -1, v19
	s_waitcnt vmcnt(0)
	v_add_f64 v[54:55], v[54:55], -v[46:47]
	global_store_dwordx2 v[52:53], v[54:55], off
	global_load_dwordx2 v[56:57], v[50:51], off
	s_waitcnt vmcnt(0)
	v_div_scale_f64 v[58:59], s[34:35], v[54:55], v[54:55], v[56:57]
	v_rcp_f64_e32 v[60:61], v[58:59]
	v_fma_f64 v[62:63], -v[58:59], v[60:61], 1.0
	v_fma_f64 v[60:61], v[60:61], v[62:63], v[60:61]
	v_div_scale_f64 v[62:63], vcc, v[56:57], v[54:55], v[56:57]
	v_fma_f64 v[64:65], -v[58:59], v[60:61], 1.0
	v_fma_f64 v[60:61], v[60:61], v[64:65], v[60:61]
	v_mul_f64 v[64:65], v[62:63], v[60:61]
	v_fma_f64 v[58:59], -v[58:59], v[64:65], v[62:63]
	v_div_fmas_f64 v[58:59], v[58:59], v[60:61], v[64:65]
	v_cmp_eq_u32_e32 vcc, 0, v19
	s_or_b64 s[12:13], vcc, s[12:13]
	v_add_co_u32_e32 v52, vcc, 8, v52
	v_addc_co_u32_e32 v53, vcc, 0, v53, vcc
	v_add_co_u32_e32 v50, vcc, 8, v50
	v_addc_co_u32_e32 v51, vcc, 0, v51, vcc
	v_div_fixup_f64 v[54:55], v[58:59], v[54:55], v[56:57]
	v_fma_f64 v[2:3], v[56:57], v[54:55], v[2:3]
	v_fma_f64 v[44:45], v[54:55], v[54:55], v[44:45]
	v_add_f64 v[0:1], v[0:1], v[2:3]
	s_andn2_b64 exec, exec, s[12:13]
	s_cbranch_execnz .LBB47_66
; %bb.67:
	s_or_b64 exec, exec, s[12:13]
	v_and_b32_e32 v1, 0x7fffffff, v1
.LBB47_68:
	s_or_b64 exec, exec, s[10:11]
                                        ; implicit-def: $vgpr56_vgpr57
                                        ; implicit-def: $vgpr58_vgpr59
	s_and_saveexec_b64 s[10:11], s[8:9]
	s_xor_b64 s[8:9], exec, s[10:11]
	s_cbranch_execz .LBB47_70
; %bb.69:
	v_mov_b32_e32 v19, s29
	v_add_co_u32_e32 v50, vcc, s28, v36
	v_addc_co_u32_e32 v19, vcc, v19, v37, vcc
	v_lshlrev_b64 v[36:37], 3, v[14:15]
	s_add_u32 s10, s26, s24
	v_add_co_u32_e32 v15, vcc, v50, v36
	v_addc_co_u32_e32 v19, vcc, v19, v37, vcc
	v_mov_b32_e32 v50, s31
	v_add_co_u32_e32 v56, vcc, s30, v15
	v_addc_co_u32_e32 v57, vcc, v19, v50, vcc
	s_addc_u32 s11, s27, s25
	v_mov_b32_e32 v15, s11
	v_add_co_u32_e32 v19, vcc, s10, v34
	v_addc_co_u32_e32 v15, vcc, v15, v35, vcc
	v_add_co_u32_e32 v58, vcc, v19, v36
	v_addc_co_u32_e32 v59, vcc, v15, v37, vcc
                                        ; implicit-def: $vgpr36_vgpr37
                                        ; implicit-def: $vgpr34_vgpr35
.LBB47_70:
	s_or_saveexec_b64 s[8:9], s[8:9]
	v_mov_b32_e32 v52, 0
	v_mov_b32_e32 v54, 0
	;; [unrolled: 1-line block ×4, first 2 shown]
	s_xor_b64 exec, exec, s[8:9]
	s_cbranch_execz .LBB47_74
; %bb.71:
	v_mov_b32_e32 v19, s29
	v_add_co_u32_e32 v36, vcc, s28, v36
	v_lshlrev_b64 v[50:51], 3, v[14:15]
	v_addc_co_u32_e32 v19, vcc, v19, v37, vcc
	v_add_co_u32_e32 v15, vcc, v36, v50
	v_addc_co_u32_e32 v19, vcc, v19, v51, vcc
	v_mov_b32_e32 v36, s31
	v_add_co_u32_e32 v56, vcc, s30, v15
	v_addc_co_u32_e32 v57, vcc, v19, v36, vcc
	v_mov_b32_e32 v15, s19
	v_add_co_u32_e32 v36, vcc, s18, v56
	s_add_u32 s10, s26, s24
	v_addc_co_u32_e32 v37, vcc, v15, v57, vcc
	s_addc_u32 s11, s27, s25
	v_mov_b32_e32 v15, s11
	v_add_co_u32_e32 v19, vcc, s10, v34
	v_addc_co_u32_e32 v15, vcc, v15, v35, vcc
	v_add_co_u32_e32 v58, vcc, v19, v50
	v_addc_co_u32_e32 v59, vcc, v15, v51, vcc
	v_mov_b32_e32 v15, s17
	v_add_co_u32_e32 v34, vcc, s16, v58
	v_mov_b32_e32 v52, 0
	v_mov_b32_e32 v54, 0
	v_addc_co_u32_e32 v35, vcc, v15, v59, vcc
	v_mov_b32_e32 v53, 0
	s_mov_b64 s[10:11], 0
	v_mov_b32_e32 v55, 0
	v_mov_b32_e32 v15, v14
.LBB47_72:                              ; =>This Inner Loop Header: Depth=1
	global_load_dwordx2 v[50:51], v[36:37], off
	v_add_u32_e32 v15, -1, v15
	s_waitcnt vmcnt(0)
	v_add_f64 v[50:51], v[50:51], -v[46:47]
	global_store_dwordx2 v[36:37], v[50:51], off
	global_load_dwordx2 v[60:61], v[34:35], off
	s_waitcnt vmcnt(0)
	v_div_scale_f64 v[62:63], s[12:13], v[50:51], v[50:51], v[60:61]
	v_rcp_f64_e32 v[64:65], v[62:63]
	v_fma_f64 v[66:67], -v[62:63], v[64:65], 1.0
	v_fma_f64 v[64:65], v[64:65], v[66:67], v[64:65]
	v_div_scale_f64 v[66:67], vcc, v[60:61], v[50:51], v[60:61]
	v_fma_f64 v[68:69], -v[62:63], v[64:65], 1.0
	v_fma_f64 v[64:65], v[64:65], v[68:69], v[64:65]
	v_mul_f64 v[68:69], v[66:67], v[64:65]
	v_fma_f64 v[62:63], -v[62:63], v[68:69], v[66:67]
	v_div_fmas_f64 v[62:63], v[62:63], v[64:65], v[68:69]
	v_cmp_le_i32_e32 vcc, v15, v18
	s_or_b64 s[10:11], vcc, s[10:11]
	v_add_co_u32_e32 v36, vcc, -8, v36
	v_addc_co_u32_e32 v37, vcc, -1, v37, vcc
	v_add_co_u32_e32 v34, vcc, -8, v34
	v_addc_co_u32_e32 v35, vcc, -1, v35, vcc
	v_div_fixup_f64 v[50:51], v[62:63], v[50:51], v[60:61]
	v_fma_f64 v[54:55], v[60:61], v[50:51], v[54:55]
	v_fma_f64 v[52:53], v[50:51], v[50:51], v[52:53]
	v_add_f64 v[0:1], v[0:1], v[54:55]
	s_andn2_b64 exec, exec, s[10:11]
	s_cbranch_execnz .LBB47_72
; %bb.73:
	s_or_b64 exec, exec, s[10:11]
.LBB47_74:
	s_or_b64 exec, exec, s[8:9]
	global_load_dwordx2 v[36:37], v[30:31], off
	global_load_dwordx2 v[50:51], v[28:29], off
	s_mov_b32 s12, 0
	v_and_b32_e32 v61, 0x7fffffff, v49
	v_mov_b32_e32 v60, v48
	s_mov_b32 s13, 0x40240000
	v_div_scale_f64 v[64:65], s[8:9], s[12:13], s[12:13], v[60:61]
	s_mov_b32 s24, 0
	s_mov_b32 s25, 0x40200000
	;; [unrolled: 1-line block ×4, first 2 shown]
	v_mov_b32_e32 v15, s19
	v_mov_b32_e32 v19, s17
	s_mov_b32 s41, 1
                                        ; implicit-def: $sgpr30_sgpr31
	v_rcp_f64_e32 v[68:69], v[64:65]
	v_fma_f64 v[72:73], -v[64:65], v[68:69], 1.0
	v_fma_f64 v[68:69], v[68:69], v[72:73], v[68:69]
	v_fma_f64 v[72:73], -v[64:65], v[68:69], 1.0
	s_waitcnt vmcnt(0)
	v_div_scale_f64 v[34:35], s[8:9], v[50:51], v[50:51], v[36:37]
	v_div_scale_f64 v[60:61], s[8:9], v[60:61], s[12:13], v[60:61]
	v_rcp_f64_e32 v[62:63], v[34:35]
	v_fma_f64 v[66:67], -v[34:35], v[62:63], 1.0
	v_fma_f64 v[62:63], v[62:63], v[66:67], v[62:63]
	v_div_scale_f64 v[66:67], vcc, v[36:37], v[50:51], v[36:37]
	v_fma_f64 v[70:71], -v[34:35], v[62:63], 1.0
	v_fma_f64 v[62:63], v[62:63], v[70:71], v[62:63]
	v_mul_f64 v[70:71], v[66:67], v[62:63]
	v_fma_f64 v[34:35], -v[34:35], v[70:71], v[66:67]
	v_fma_f64 v[66:67], v[68:69], v[72:73], v[68:69]
	v_add_f64 v[68:69], v[54:55], -v[2:3]
	v_add_f64 v[2:3], v[24:25], v[2:3]
	v_div_fmas_f64 v[34:35], v[34:35], v[62:63], v[70:71]
	v_mul_f64 v[62:63], v[60:61], v[66:67]
	s_mov_b64 vcc, s[8:9]
	v_add_f64 v[70:71], v[44:45], v[52:53]
	v_fma_f64 v[68:69], v[68:69], s[24:25], v[32:33]
	v_add_f64 v[2:3], v[2:3], v[54:55]
	v_fma_f64 v[64:65], -v[64:65], v[62:63], v[60:61]
	v_div_fixup_f64 v[60:61], v[34:35], v[50:51], v[36:37]
	v_div_fmas_f64 v[62:63], v[64:65], v[66:67], v[62:63]
	v_add_f64 v[34:35], v[42:43], v[46:47]
	v_mul_f64 v[64:65], v[36:37], v[60:61]
	v_fma_f64 v[54:55], v[60:61], v[60:61], v[70:71]
	v_fma_f64 v[46:47], v[36:37], v[60:61], v[2:3]
	v_add_co_u32_e32 v36, vcc, s18, v56
	v_addc_co_u32_e32 v37, vcc, v15, v57, vcc
	s_mov_b32 s18, 0
	v_fma_f64 v[42:43], |v[64:65]|, s[26:27], v[68:69]
	v_div_fixup_f64 v[2:3], v[62:63], s[12:13], |v[48:49]|
	v_xor_b32_e32 v15, 0x80000000, v47
	v_mov_b32_e32 v48, v46
	v_cndmask_b32_e64 v49, v47, v15, s[0:1]
	s_brev_b32 s19, 8
	v_mov_b32_e32 v15, 0x260
	v_mov_b32_e32 v64, 0xffffff80
	v_fma_f64 v[42:43], |v[34:35]|, v[54:55], v[42:43]
	v_cmp_gt_f64_e64 s[28:29], v[48:49], v[2:3]
	v_add_f64 v[0:1], v[0:1], v[42:43]
	v_add_co_u32_e32 v42, vcc, s16, v58
	v_addc_co_u32_e32 v43, vcc, v19, v59, vcc
	s_mov_b64 s[16:17], 0
	v_mov_b32_e32 v19, 0x100
	s_branch .LBB47_77
.LBB47_75:                              ;   in Loop: Header=BB47_77 Depth=1
	s_or_b64 exec, exec, s[8:9]
	global_load_dwordx2 v[56:57], v[30:31], off
	global_load_dwordx2 v[50:51], v[28:29], off
	v_and_b32_e32 v61, 0x7fffffff, v47
	v_mov_b32_e32 v60, v46
	v_div_scale_f64 v[62:63], s[8:9], s[12:13], s[12:13], v[60:61]
	v_add_f64 v[34:35], v[34:35], v[48:49]
	s_add_i32 s41, s41, 1
	v_rcp_f64_e32 v[67:68], v[62:63]
	s_waitcnt vmcnt(0)
	v_div_scale_f64 v[58:59], s[8:9], v[50:51], v[50:51], v[56:57]
	v_div_scale_f64 v[71:72], vcc, v[56:57], v[50:51], v[56:57]
	v_div_scale_f64 v[60:61], s[8:9], v[60:61], s[12:13], v[60:61]
	v_rcp_f64_e32 v[65:66], v[58:59]
	v_fma_f64 v[69:70], -v[58:59], v[65:66], 1.0
	v_fma_f64 v[65:66], v[65:66], v[69:70], v[65:66]
	v_fma_f64 v[69:70], -v[62:63], v[67:68], 1.0
	v_fma_f64 v[73:74], -v[58:59], v[65:66], 1.0
	v_fma_f64 v[67:68], v[67:68], v[69:70], v[67:68]
	v_fma_f64 v[65:66], v[65:66], v[73:74], v[65:66]
	v_fma_f64 v[69:70], -v[62:63], v[67:68], 1.0
	v_mul_f64 v[73:74], v[71:72], v[65:66]
	v_fma_f64 v[67:68], v[67:68], v[69:70], v[67:68]
	v_fma_f64 v[58:59], -v[58:59], v[73:74], v[71:72]
	v_mul_f64 v[69:70], v[60:61], v[67:68]
	v_div_fmas_f64 v[58:59], v[58:59], v[65:66], v[73:74]
	v_fma_f64 v[60:61], -v[62:63], v[69:70], v[60:61]
	v_add_f64 v[62:63], v[24:25], v[2:3]
	s_mov_b64 vcc, s[8:9]
	v_add_f64 v[2:3], v[54:55], -v[2:3]
	v_div_fmas_f64 v[65:66], v[60:61], v[67:68], v[69:70]
	v_add_f64 v[54:55], v[62:63], v[54:55]
	v_fma_f64 v[2:3], v[2:3], s[24:25], v[32:33]
	v_div_fixup_f64 v[60:61], v[58:59], v[50:51], v[56:57]
	v_add_f64 v[58:59], v[44:45], v[52:53]
	v_mul_f64 v[62:63], v[56:57], v[60:61]
	v_fma_f64 v[56:57], v[56:57], v[60:61], v[54:55]
	v_fma_f64 v[54:55], v[60:61], v[60:61], v[58:59]
	v_div_fixup_f64 v[48:49], v[65:66], s[12:13], |v[46:47]|
	v_fma_f64 v[2:3], |v[62:63]|, s[26:27], v[2:3]
	v_mul_f64 v[46:47], v[46:47], v[56:57]
	v_cmp_gt_f64_e64 s[8:9], |v[56:57]|, v[48:49]
	v_fma_f64 v[2:3], |v[34:35]|, v[54:55], v[2:3]
	v_cmp_lt_f64_e32 vcc, 0, v[46:47]
	v_mov_b32_e32 v46, v56
	v_mov_b32_e32 v47, v57
	v_add_f64 v[0:1], v[0:1], v[2:3]
	s_and_b64 s[8:9], vcc, s[8:9]
	s_xor_b64 s[8:9], s[28:29], s[8:9]
	s_cmp_eq_u32 s41, 50
	s_cselect_b64 s[10:11], -1, 0
	s_andn2_b64 s[28:29], s[30:31], exec
	s_and_b64 s[10:11], s[10:11], exec
	s_or_b64 s[30:31], s[28:29], s[10:11]
                                        ; implicit-def: $sgpr28_sgpr29
.LBB47_76:                              ;   in Loop: Header=BB47_77 Depth=1
	s_or_b64 exec, exec, s[34:35]
	s_and_b64 s[10:11], exec, s[30:31]
	s_or_b64 s[16:17], s[10:11], s[16:17]
	s_andn2_b64 s[10:11], s[28:29], exec
	s_and_b64 s[8:9], s[8:9], exec
	s_or_b64 s[28:29], s[10:11], s[8:9]
	s_andn2_b64 exec, exec, s[16:17]
	s_cbranch_execz .LBB47_120
.LBB47_77:                              ; =>This Loop Header: Depth=1
                                        ;     Child Loop BB47_114 Depth 2
                                        ;     Child Loop BB47_118 Depth 2
	v_mul_f64 v[0:1], s[22:23], v[0:1]
	s_or_b64 s[30:31], s[30:31], exec
                                        ; implicit-def: $sgpr8_sgpr9
	v_cmp_nle_f64_e64 s[10:11], |v[46:47]|, v[0:1]
                                        ; implicit-def: $vgpr0_vgpr1
	s_and_saveexec_b64 s[34:35], s[10:11]
	s_cbranch_execz .LBB47_76
; %bb.78:                               ;   in Loop: Header=BB47_77 Depth=1
	global_load_dwordx4 v[0:3], v[10:11], off
	s_xor_b64 s[10:11], s[28:29], -1
                                        ; implicit-def: $vgpr62_vgpr63
	s_and_saveexec_b64 s[8:9], s[10:11]
	s_xor_b64 s[8:9], exec, s[8:9]
	s_cbranch_execz .LBB47_80
; %bb.79:                               ;   in Loop: Header=BB47_77 Depth=1
	v_fma_f64 v[48:49], v[60:61], v[60:61], v[44:45]
	v_fma_f64 v[56:57], v[60:61], v[60:61], v[52:53]
	v_cndmask_b32_e64 v45, v45, v49, s[0:1]
	v_cndmask_b32_e64 v44, v44, v48, s[0:1]
	s_waitcnt vmcnt(0)
	v_fma_f64 v[48:49], -v[44:45], v[0:1], v[46:47]
	v_cndmask_b32_e64 v53, v57, v53, s[0:1]
	v_cndmask_b32_e64 v52, v56, v52, s[0:1]
	v_fma_f64 v[62:63], -v[52:53], v[2:3], v[48:49]
.LBB47_80:                              ;   in Loop: Header=BB47_77 Depth=1
	s_andn2_saveexec_b64 s[8:9], s[8:9]
	s_cbranch_execz .LBB47_86
; %bb.81:                               ;   in Loop: Header=BB47_77 Depth=1
                                        ; implicit-def: $vgpr62_vgpr63
	s_and_saveexec_b64 s[36:37], s[2:3]
	s_xor_b64 s[36:37], exec, s[36:37]
	s_cbranch_execz .LBB47_83
; %bb.82:                               ;   in Loop: Header=BB47_77 Depth=1
	global_load_dwordx2 v[48:49], v[20:21], off offset:8
	s_waitcnt vmcnt(0)
	v_mul_f64 v[56:57], v[22:23], v[48:49]
	v_mul_f64 v[48:49], v[48:49], v[56:57]
	v_div_scale_f64 v[56:57], s[38:39], v[2:3], v[2:3], v[48:49]
	v_rcp_f64_e32 v[58:59], v[56:57]
	v_fma_f64 v[60:61], -v[56:57], v[58:59], 1.0
	v_fma_f64 v[58:59], v[58:59], v[60:61], v[58:59]
	v_div_scale_f64 v[60:61], vcc, v[48:49], v[2:3], v[48:49]
	v_fma_f64 v[62:63], -v[56:57], v[58:59], 1.0
	v_fma_f64 v[58:59], v[58:59], v[62:63], v[58:59]
	v_mul_f64 v[62:63], v[60:61], v[58:59]
	v_fma_f64 v[56:57], -v[56:57], v[62:63], v[60:61]
	v_div_fmas_f64 v[56:57], v[56:57], v[58:59], v[62:63]
	v_div_fixup_f64 v[48:49], v[56:57], v[2:3], v[48:49]
	v_div_scale_f64 v[56:57], s[38:39], v[2:3], v[2:3], v[48:49]
	v_div_scale_f64 v[62:63], vcc, v[48:49], v[2:3], v[48:49]
	v_rcp_f64_e32 v[58:59], v[56:57]
	v_fma_f64 v[60:61], -v[56:57], v[58:59], 1.0
	v_fma_f64 v[58:59], v[58:59], v[60:61], v[58:59]
	v_fma_f64 v[60:61], -v[56:57], v[58:59], 1.0
	v_fma_f64 v[58:59], v[58:59], v[60:61], v[58:59]
	v_mul_f64 v[60:61], v[62:63], v[58:59]
	v_fma_f64 v[56:57], -v[56:57], v[60:61], v[62:63]
	v_div_fmas_f64 v[56:57], v[56:57], v[58:59], v[60:61]
	v_fma_f64 v[58:59], -v[54:55], v[0:1], v[46:47]
	v_div_fixup_f64 v[48:49], v[56:57], v[2:3], v[48:49]
	v_add_f64 v[62:63], v[58:59], -v[48:49]
.LBB47_83:                              ;   in Loop: Header=BB47_77 Depth=1
	s_andn2_saveexec_b64 s[36:37], s[36:37]
	s_cbranch_execz .LBB47_85
; %bb.84:                               ;   in Loop: Header=BB47_77 Depth=1
	global_load_dwordx2 v[48:49], v[20:21], off
	s_waitcnt vmcnt(0)
	v_mul_f64 v[56:57], v[16:17], v[48:49]
	v_mul_f64 v[48:49], v[48:49], v[56:57]
	v_div_scale_f64 v[56:57], s[38:39], v[0:1], v[0:1], v[48:49]
	v_rcp_f64_e32 v[58:59], v[56:57]
	v_fma_f64 v[60:61], -v[56:57], v[58:59], 1.0
	v_fma_f64 v[58:59], v[58:59], v[60:61], v[58:59]
	v_div_scale_f64 v[60:61], vcc, v[48:49], v[0:1], v[48:49]
	v_fma_f64 v[62:63], -v[56:57], v[58:59], 1.0
	v_fma_f64 v[58:59], v[58:59], v[62:63], v[58:59]
	v_mul_f64 v[62:63], v[60:61], v[58:59]
	v_fma_f64 v[56:57], -v[56:57], v[62:63], v[60:61]
	v_div_fmas_f64 v[56:57], v[56:57], v[58:59], v[62:63]
	v_div_fixup_f64 v[48:49], v[56:57], v[0:1], v[48:49]
	v_div_scale_f64 v[56:57], s[38:39], v[0:1], v[0:1], v[48:49]
	v_div_scale_f64 v[62:63], vcc, v[48:49], v[0:1], v[48:49]
	v_rcp_f64_e32 v[58:59], v[56:57]
	v_fma_f64 v[60:61], -v[56:57], v[58:59], 1.0
	v_fma_f64 v[58:59], v[58:59], v[60:61], v[58:59]
	v_fma_f64 v[60:61], -v[56:57], v[58:59], 1.0
	v_fma_f64 v[58:59], v[58:59], v[60:61], v[58:59]
	v_mul_f64 v[60:61], v[62:63], v[58:59]
	v_fma_f64 v[56:57], -v[56:57], v[60:61], v[62:63]
	v_div_fmas_f64 v[56:57], v[56:57], v[58:59], v[60:61]
	v_fma_f64 v[58:59], -v[54:55], v[2:3], v[46:47]
	v_div_fixup_f64 v[48:49], v[56:57], v[0:1], v[48:49]
	v_add_f64 v[62:63], v[58:59], -v[48:49]
.LBB47_85:                              ;   in Loop: Header=BB47_77 Depth=1
	s_or_b64 exec, exec, s[36:37]
.LBB47_86:                              ;   in Loop: Header=BB47_77 Depth=1
	s_or_b64 exec, exec, s[8:9]
	s_waitcnt vmcnt(0)
	v_mul_f64 v[48:49], v[0:1], v[2:3]
	v_add_f64 v[58:59], v[0:1], v[2:3]
	v_cmp_neq_f64_e32 vcc, 0, v[62:63]
	v_mul_f64 v[60:61], v[54:55], v[48:49]
	v_mul_f64 v[56:57], v[46:47], v[48:49]
                                        ; implicit-def: $vgpr48_vgpr49
	v_fma_f64 v[58:59], v[46:47], v[58:59], -v[60:61]
	s_and_saveexec_b64 s[8:9], vcc
	s_xor_b64 s[36:37], exec, s[8:9]
	s_cbranch_execz .LBB47_92
; %bb.87:                               ;   in Loop: Header=BB47_77 Depth=1
	v_mul_f64 v[0:1], v[56:57], -4.0
	v_cmp_ge_f64_e64 s[8:9], 0, v[58:59]
	v_mul_f64 v[0:1], v[0:1], v[62:63]
	v_fma_f64 v[0:1], v[58:59], v[58:59], v[0:1]
	v_cmp_lt_f64_e64 vcc, |v[0:1]|, s[18:19]
	v_cndmask_b32_e32 v2, 0, v19, vcc
	v_ldexp_f64 v[0:1], |v[0:1]|, v2
	v_rsq_f64_e32 v[2:3], v[0:1]
	v_mul_f64 v[44:45], v[0:1], v[2:3]
	v_mul_f64 v[2:3], v[2:3], 0.5
	v_fma_f64 v[48:49], -v[2:3], v[44:45], 0.5
	v_fma_f64 v[44:45], v[44:45], v[48:49], v[44:45]
	v_fma_f64 v[2:3], v[2:3], v[48:49], v[2:3]
	v_fma_f64 v[48:49], -v[44:45], v[44:45], v[0:1]
	v_fma_f64 v[44:45], v[48:49], v[2:3], v[44:45]
	v_fma_f64 v[48:49], -v[44:45], v[44:45], v[0:1]
	v_fma_f64 v[2:3], v[48:49], v[2:3], v[44:45]
	v_cndmask_b32_e32 v44, 0, v64, vcc
	v_cmp_class_f64_e32 vcc, v[0:1], v15
                                        ; implicit-def: $vgpr48_vgpr49
	v_ldexp_f64 v[2:3], v[2:3], v44
	v_cndmask_b32_e32 v1, v3, v1, vcc
	v_cndmask_b32_e32 v0, v2, v0, vcc
	s_and_saveexec_b64 s[38:39], s[8:9]
	s_xor_b64 s[8:9], exec, s[38:39]
	s_cbranch_execz .LBB47_89
; %bb.88:                               ;   in Loop: Header=BB47_77 Depth=1
	v_add_f64 v[0:1], v[58:59], -v[0:1]
	v_add_f64 v[2:3], v[62:63], v[62:63]
                                        ; implicit-def: $vgpr58_vgpr59
	v_div_scale_f64 v[44:45], s[38:39], v[2:3], v[2:3], v[0:1]
	v_div_scale_f64 v[56:57], vcc, v[0:1], v[2:3], v[0:1]
	v_rcp_f64_e32 v[48:49], v[44:45]
	v_fma_f64 v[52:53], -v[44:45], v[48:49], 1.0
	v_fma_f64 v[48:49], v[48:49], v[52:53], v[48:49]
	v_fma_f64 v[52:53], -v[44:45], v[48:49], 1.0
	v_fma_f64 v[48:49], v[48:49], v[52:53], v[48:49]
	v_mul_f64 v[52:53], v[56:57], v[48:49]
	v_fma_f64 v[44:45], -v[44:45], v[52:53], v[56:57]
                                        ; implicit-def: $vgpr56_vgpr57
	v_div_fmas_f64 v[44:45], v[44:45], v[48:49], v[52:53]
	v_div_fixup_f64 v[48:49], v[44:45], v[2:3], v[0:1]
                                        ; implicit-def: $vgpr0_vgpr1
.LBB47_89:                              ;   in Loop: Header=BB47_77 Depth=1
	s_andn2_saveexec_b64 s[8:9], s[8:9]
	s_cbranch_execz .LBB47_91
; %bb.90:                               ;   in Loop: Header=BB47_77 Depth=1
	v_add_f64 v[2:3], v[56:57], v[56:57]
	v_add_f64 v[0:1], v[58:59], v[0:1]
	v_div_scale_f64 v[44:45], s[38:39], v[0:1], v[0:1], v[2:3]
	v_div_scale_f64 v[56:57], vcc, v[2:3], v[0:1], v[2:3]
	v_rcp_f64_e32 v[48:49], v[44:45]
	v_fma_f64 v[52:53], -v[44:45], v[48:49], 1.0
	v_fma_f64 v[48:49], v[48:49], v[52:53], v[48:49]
	v_fma_f64 v[52:53], -v[44:45], v[48:49], 1.0
	v_fma_f64 v[48:49], v[48:49], v[52:53], v[48:49]
	v_mul_f64 v[52:53], v[56:57], v[48:49]
	v_fma_f64 v[44:45], -v[44:45], v[52:53], v[56:57]
	v_div_fmas_f64 v[44:45], v[44:45], v[48:49], v[52:53]
	v_div_fixup_f64 v[48:49], v[44:45], v[0:1], v[2:3]
.LBB47_91:                              ;   in Loop: Header=BB47_77 Depth=1
	s_or_b64 exec, exec, s[8:9]
                                        ; implicit-def: $vgpr58_vgpr59
                                        ; implicit-def: $vgpr56_vgpr57
                                        ; implicit-def: $vgpr0_vgpr1
                                        ; implicit-def: $vgpr52_vgpr53
                                        ; implicit-def: $vgpr44_vgpr45
.LBB47_92:                              ;   in Loop: Header=BB47_77 Depth=1
	s_andn2_saveexec_b64 s[8:9], s[36:37]
	s_cbranch_execz .LBB47_104
; %bb.93:                               ;   in Loop: Header=BB47_77 Depth=1
	v_cmp_eq_f64_e32 vcc, 0, v[58:59]
	s_and_saveexec_b64 s[36:37], vcc
	s_cbranch_execz .LBB47_103
; %bb.94:                               ;   in Loop: Header=BB47_77 Depth=1
                                        ; implicit-def: $vgpr58_vgpr59
	s_and_saveexec_b64 s[38:39], s[10:11]
	s_xor_b64 s[10:11], exec, s[38:39]
	s_cbranch_execz .LBB47_96
; %bb.95:                               ;   in Loop: Header=BB47_77 Depth=1
	v_mul_f64 v[2:3], v[2:3], v[2:3]
	v_mul_f64 v[0:1], v[0:1], v[0:1]
	;; [unrolled: 1-line block ×3, first 2 shown]
                                        ; implicit-def: $vgpr52_vgpr53
	v_fma_f64 v[58:59], v[0:1], v[44:45], v[2:3]
                                        ; implicit-def: $vgpr2_vgpr3
                                        ; implicit-def: $vgpr44_vgpr45
.LBB47_96:                              ;   in Loop: Header=BB47_77 Depth=1
	s_andn2_saveexec_b64 s[10:11], s[10:11]
	s_cbranch_execz .LBB47_102
; %bb.97:                               ;   in Loop: Header=BB47_77 Depth=1
	v_add_f64 v[44:45], v[44:45], v[52:53]
                                        ; implicit-def: $vgpr58_vgpr59
	s_and_saveexec_b64 s[38:39], s[2:3]
	s_xor_b64 s[38:39], exec, s[38:39]
	s_cbranch_execz .LBB47_99
; %bb.98:                               ;   in Loop: Header=BB47_77 Depth=1
	global_load_dwordx2 v[2:3], v[20:21], off offset:8
	v_mul_f64 v[0:1], v[0:1], v[0:1]
	s_waitcnt vmcnt(0)
	v_mul_f64 v[2:3], v[2:3], v[2:3]
	v_fma_f64 v[58:59], v[0:1], v[44:45], v[2:3]
                                        ; implicit-def: $vgpr2_vgpr3
                                        ; implicit-def: $vgpr44_vgpr45
.LBB47_99:                              ;   in Loop: Header=BB47_77 Depth=1
	s_andn2_saveexec_b64 s[38:39], s[38:39]
	s_cbranch_execz .LBB47_101
; %bb.100:                              ;   in Loop: Header=BB47_77 Depth=1
	global_load_dwordx2 v[0:1], v[20:21], off
	v_mul_f64 v[2:3], v[2:3], v[2:3]
	s_waitcnt vmcnt(0)
	v_mul_f64 v[0:1], v[0:1], v[0:1]
	v_fma_f64 v[58:59], v[2:3], v[44:45], v[0:1]
.LBB47_101:                             ;   in Loop: Header=BB47_77 Depth=1
	s_or_b64 exec, exec, s[38:39]
.LBB47_102:                             ;   in Loop: Header=BB47_77 Depth=1
	s_or_b64 exec, exec, s[10:11]
.LBB47_103:                             ;   in Loop: Header=BB47_77 Depth=1
	s_or_b64 exec, exec, s[36:37]
	v_div_scale_f64 v[0:1], s[10:11], v[58:59], v[58:59], v[56:57]
	v_div_scale_f64 v[48:49], vcc, v[56:57], v[58:59], v[56:57]
	v_rcp_f64_e32 v[2:3], v[0:1]
	v_fma_f64 v[44:45], -v[0:1], v[2:3], 1.0
	v_fma_f64 v[2:3], v[2:3], v[44:45], v[2:3]
	v_fma_f64 v[44:45], -v[0:1], v[2:3], 1.0
	v_fma_f64 v[2:3], v[2:3], v[44:45], v[2:3]
	v_mul_f64 v[44:45], v[48:49], v[2:3]
	v_fma_f64 v[0:1], -v[0:1], v[44:45], v[48:49]
	v_div_fmas_f64 v[0:1], v[0:1], v[2:3], v[44:45]
	v_div_fixup_f64 v[48:49], v[0:1], v[58:59], v[56:57]
.LBB47_104:                             ;   in Loop: Header=BB47_77 Depth=1
	s_or_b64 exec, exec, s[8:9]
	v_mul_f64 v[0:1], v[46:47], v[48:49]
	v_cmp_le_f64_e32 vcc, 0, v[0:1]
	s_and_saveexec_b64 s[8:9], vcc
	s_cbranch_execz .LBB47_106
; %bb.105:                              ;   in Loop: Header=BB47_77 Depth=1
	v_div_scale_f64 v[0:1], s[10:11], v[54:55], v[54:55], -v[46:47]
	v_div_scale_f64 v[48:49], vcc, -v[46:47], v[54:55], -v[46:47]
	v_rcp_f64_e32 v[2:3], v[0:1]
	v_fma_f64 v[44:45], -v[0:1], v[2:3], 1.0
	v_fma_f64 v[2:3], v[2:3], v[44:45], v[2:3]
	v_fma_f64 v[44:45], -v[0:1], v[2:3], 1.0
	v_fma_f64 v[2:3], v[2:3], v[44:45], v[2:3]
	v_mul_f64 v[44:45], v[48:49], v[2:3]
	v_fma_f64 v[0:1], -v[0:1], v[44:45], v[48:49]
	v_div_fmas_f64 v[0:1], v[0:1], v[2:3], v[44:45]
	v_div_fixup_f64 v[48:49], v[0:1], v[54:55], -v[46:47]
.LBB47_106:                             ;   in Loop: Header=BB47_77 Depth=1
	s_or_b64 exec, exec, s[8:9]
	v_cmp_lt_f64_e32 vcc, v[40:41], v[34:35]
	v_cmp_lt_f64_e64 s[8:9], 0, v[46:47]
	v_cmp_lt_f64_e64 s[10:11], v[34:35], v[38:39]
	v_add_f64 v[0:1], v[34:35], v[48:49]
	v_cndmask_b32_e32 v2, v40, v34, vcc
	v_cndmask_b32_e32 v3, v41, v35, vcc
	v_cmp_nge_f64_e32 vcc, 0, v[46:47]
	s_and_b64 s[8:9], s[8:9], s[10:11]
	v_cndmask_b32_e64 v39, v39, v35, s[8:9]
	v_cndmask_b32_e64 v38, v38, v34, s[8:9]
	v_cndmask_b32_e32 v41, v3, v41, vcc
	v_cndmask_b32_e32 v40, v2, v40, vcc
	v_cmp_gt_f64_e32 vcc, v[0:1], v[38:39]
	v_cmp_lt_f64_e64 s[8:9], v[0:1], v[40:41]
	s_or_b64 s[10:11], vcc, s[8:9]
	s_and_saveexec_b64 s[8:9], s[10:11]
	s_cbranch_execz .LBB47_112
; %bb.107:                              ;   in Loop: Header=BB47_77 Depth=1
	v_cmp_ngt_f64_e32 vcc, 0, v[46:47]
                                        ; implicit-def: $vgpr48_vgpr49
	s_and_saveexec_b64 s[10:11], vcc
	s_xor_b64 s[10:11], exec, s[10:11]
	s_cbranch_execz .LBB47_109
; %bb.108:                              ;   in Loop: Header=BB47_77 Depth=1
	v_add_f64 v[0:1], v[40:41], -v[34:35]
	v_mul_f64 v[48:49], v[0:1], 0.5
.LBB47_109:                             ;   in Loop: Header=BB47_77 Depth=1
	s_andn2_saveexec_b64 s[10:11], s[10:11]
	s_cbranch_execz .LBB47_111
; %bb.110:                              ;   in Loop: Header=BB47_77 Depth=1
	v_add_f64 v[0:1], v[38:39], -v[34:35]
	v_mul_f64 v[48:49], v[0:1], 0.5
.LBB47_111:                             ;   in Loop: Header=BB47_77 Depth=1
	s_or_b64 exec, exec, s[10:11]
.LBB47_112:                             ;   in Loop: Header=BB47_77 Depth=1
	s_or_b64 exec, exec, s[8:9]
	v_add_f64 v[50:51], v[50:51], -v[48:49]
	v_mov_b32_e32 v44, 0
	v_mov_b32_e32 v0, 0
	;; [unrolled: 1-line block ×6, first 2 shown]
	global_store_dwordx2 v[28:29], v[50:51], off
	s_and_saveexec_b64 s[8:9], s[6:7]
	s_cbranch_execz .LBB47_116
; %bb.113:                              ;   in Loop: Header=BB47_77 Depth=1
	v_mov_b32_e32 v44, 0
	v_mov_b32_e32 v51, v13
	;; [unrolled: 1-line block ×6, first 2 shown]
	s_mov_b64 s[10:11], 0
	v_mov_b32_e32 v50, v12
	v_mov_b32_e32 v52, v8
	;; [unrolled: 1-line block ×5, first 2 shown]
.LBB47_114:                             ;   Parent Loop BB47_77 Depth=1
                                        ; =>  This Inner Loop Header: Depth=2
	global_load_dwordx2 v[55:56], v[52:53], off
	v_add_u32_e32 v54, -1, v54
	s_waitcnt vmcnt(0)
	v_add_f64 v[55:56], v[55:56], -v[48:49]
	global_store_dwordx2 v[52:53], v[55:56], off
	global_load_dwordx2 v[57:58], v[50:51], off
	s_waitcnt vmcnt(0)
	v_div_scale_f64 v[59:60], s[36:37], v[55:56], v[55:56], v[57:58]
	v_rcp_f64_e32 v[61:62], v[59:60]
	v_fma_f64 v[65:66], -v[59:60], v[61:62], 1.0
	v_fma_f64 v[61:62], v[61:62], v[65:66], v[61:62]
	v_div_scale_f64 v[65:66], vcc, v[57:58], v[55:56], v[57:58]
	v_fma_f64 v[67:68], -v[59:60], v[61:62], 1.0
	v_fma_f64 v[61:62], v[61:62], v[67:68], v[61:62]
	v_mul_f64 v[67:68], v[65:66], v[61:62]
	v_fma_f64 v[59:60], -v[59:60], v[67:68], v[65:66]
	v_div_fmas_f64 v[59:60], v[59:60], v[61:62], v[67:68]
	v_cmp_eq_u32_e32 vcc, 0, v54
	s_or_b64 s[10:11], vcc, s[10:11]
	v_add_co_u32_e32 v52, vcc, 8, v52
	v_addc_co_u32_e32 v53, vcc, 0, v53, vcc
	v_add_co_u32_e32 v50, vcc, 8, v50
	v_addc_co_u32_e32 v51, vcc, 0, v51, vcc
	v_div_fixup_f64 v[55:56], v[59:60], v[55:56], v[57:58]
	v_fma_f64 v[2:3], v[57:58], v[55:56], v[2:3]
	v_fma_f64 v[44:45], v[55:56], v[55:56], v[44:45]
	v_add_f64 v[0:1], v[0:1], v[2:3]
	s_andn2_b64 exec, exec, s[10:11]
	s_cbranch_execnz .LBB47_114
; %bb.115:                              ;   in Loop: Header=BB47_77 Depth=1
	s_or_b64 exec, exec, s[10:11]
	v_and_b32_e32 v1, 0x7fffffff, v1
.LBB47_116:                             ;   in Loop: Header=BB47_77 Depth=1
	s_or_b64 exec, exec, s[8:9]
	v_mov_b32_e32 v52, 0
	v_mov_b32_e32 v54, 0
	;; [unrolled: 1-line block ×4, first 2 shown]
	s_and_saveexec_b64 s[8:9], s[4:5]
	s_cbranch_execz .LBB47_75
; %bb.117:                              ;   in Loop: Header=BB47_77 Depth=1
	v_mov_b32_e32 v52, 0
	v_mov_b32_e32 v51, v43
	;; [unrolled: 1-line block ×5, first 2 shown]
	s_mov_b64 s[10:11], 0
	v_mov_b32_e32 v50, v42
	v_mov_b32_e32 v56, v36
	;; [unrolled: 1-line block ×4, first 2 shown]
.LBB47_118:                             ;   Parent Loop BB47_77 Depth=1
                                        ; =>  This Inner Loop Header: Depth=2
	global_load_dwordx2 v[59:60], v[56:57], off
	v_add_u32_e32 v58, -1, v58
	s_waitcnt vmcnt(0)
	v_add_f64 v[59:60], v[59:60], -v[48:49]
	global_store_dwordx2 v[56:57], v[59:60], off
	global_load_dwordx2 v[61:62], v[50:51], off
	s_waitcnt vmcnt(0)
	v_div_scale_f64 v[65:66], s[36:37], v[59:60], v[59:60], v[61:62]
	v_rcp_f64_e32 v[67:68], v[65:66]
	v_fma_f64 v[69:70], -v[65:66], v[67:68], 1.0
	v_fma_f64 v[67:68], v[67:68], v[69:70], v[67:68]
	v_div_scale_f64 v[69:70], vcc, v[61:62], v[59:60], v[61:62]
	v_fma_f64 v[71:72], -v[65:66], v[67:68], 1.0
	v_fma_f64 v[67:68], v[67:68], v[71:72], v[67:68]
	v_mul_f64 v[71:72], v[69:70], v[67:68]
	v_fma_f64 v[65:66], -v[65:66], v[71:72], v[69:70]
	v_div_fmas_f64 v[65:66], v[65:66], v[67:68], v[71:72]
	v_cmp_le_i32_e32 vcc, v58, v18
	s_or_b64 s[10:11], vcc, s[10:11]
	v_add_co_u32_e32 v56, vcc, -8, v56
	v_addc_co_u32_e32 v57, vcc, -1, v57, vcc
	v_add_co_u32_e32 v50, vcc, -8, v50
	v_addc_co_u32_e32 v51, vcc, -1, v51, vcc
	v_div_fixup_f64 v[59:60], v[65:66], v[59:60], v[61:62]
	v_fma_f64 v[54:55], v[61:62], v[59:60], v[54:55]
	v_fma_f64 v[52:53], v[59:60], v[59:60], v[52:53]
	v_add_f64 v[0:1], v[0:1], v[54:55]
	s_andn2_b64 exec, exec, s[10:11]
	s_cbranch_execnz .LBB47_118
; %bb.119:                              ;   in Loop: Header=BB47_77 Depth=1
	s_or_b64 exec, exec, s[10:11]
	s_branch .LBB47_75
.LBB47_120:
	s_or_b64 exec, exec, s[16:17]
	v_add_f64 v[1:2], v[26:27], v[34:35]
.LBB47_121:
	s_or_b64 exec, exec, s[20:21]
                                        ; implicit-def: $vgpr22
                                        ; implicit-def: $vgpr0
                                        ; implicit-def: $vgpr8_vgpr9
                                        ; implicit-def: $vgpr12_vgpr13
                                        ; implicit-def: $vgpr10_vgpr11
                                        ; implicit-def: $vgpr16_vgpr17
                                        ; implicit-def: $vgpr20_vgpr21
.LBB47_122:
	s_andn2_saveexec_b64 s[6:7], s[14:15]
	s_cbranch_execz .LBB47_192
; %bb.123:
	v_ashrrev_i32_e32 v23, 31, v22
	v_lshlrev_b64 v[14:15], 3, v[22:23]
	s_waitcnt vmcnt(0)
	v_fma_f64 v[18:19], |v[6:7]|, 0.5, v[16:17]
	v_add_co_u32_e32 v1, vcc, v8, v14
	v_addc_co_u32_e32 v2, vcc, v9, v15, vcc
	global_load_dwordx2 v[26:27], v[1:2], off offset:-16
	v_mov_b32_e32 v30, 0
	v_mov_b32_e32 v31, 0
	v_cmp_lt_i32_e32 vcc, 2, v22
	s_and_saveexec_b64 s[2:3], vcc
	s_cbranch_execz .LBB47_127
; %bb.124:
	v_mov_b32_e32 v30, 0
	v_mov_b32_e32 v24, v13
	;; [unrolled: 1-line block ×3, first 2 shown]
	v_add_u32_e32 v3, -2, v22
	v_mov_b32_e32 v31, 0
	s_mov_b64 s[4:5], 0
	v_mov_b32_e32 v23, v12
	v_mov_b32_e32 v28, v8
.LBB47_125:                             ; =>This Inner Loop Header: Depth=1
	global_load_dwordx2 v[32:33], v[28:29], off
	global_load_dwordx2 v[34:35], v[23:24], off
	v_add_u32_e32 v3, -1, v3
	s_waitcnt vmcnt(1)
	v_add_f64 v[32:33], v[32:33], -v[18:19]
	s_waitcnt vmcnt(0)
	v_div_scale_f64 v[36:37], s[0:1], v[32:33], v[32:33], v[34:35]
	v_cmp_eq_u32_e64 s[0:1], 0, v3
	s_or_b64 s[4:5], s[0:1], s[4:5]
	v_rcp_f64_e32 v[38:39], v[36:37]
	v_fma_f64 v[40:41], -v[36:37], v[38:39], 1.0
	v_fma_f64 v[38:39], v[38:39], v[40:41], v[38:39]
	v_div_scale_f64 v[40:41], vcc, v[34:35], v[32:33], v[34:35]
	v_fma_f64 v[42:43], -v[36:37], v[38:39], 1.0
	v_fma_f64 v[38:39], v[38:39], v[42:43], v[38:39]
	v_mul_f64 v[42:43], v[40:41], v[38:39]
	v_fma_f64 v[36:37], -v[36:37], v[42:43], v[40:41]
	v_div_fmas_f64 v[36:37], v[36:37], v[38:39], v[42:43]
	v_add_co_u32_e32 v28, vcc, 8, v28
	v_addc_co_u32_e32 v29, vcc, 0, v29, vcc
	v_add_co_u32_e32 v23, vcc, 8, v23
	v_addc_co_u32_e32 v24, vcc, 0, v24, vcc
	v_div_fixup_f64 v[32:33], v[36:37], v[32:33], v[34:35]
	v_fma_f64 v[30:31], v[34:35], v[32:33], v[30:31]
	s_andn2_b64 exec, exec, s[4:5]
	s_cbranch_execnz .LBB47_125
; %bb.126:
	s_or_b64 exec, exec, s[4:5]
.LBB47_127:
	s_or_b64 exec, exec, s[2:3]
	v_add_co_u32_e32 v14, vcc, v12, v14
	v_addc_co_u32_e32 v15, vcc, v13, v15, vcc
	global_load_dwordx2 v[32:33], v[14:15], off offset:-16
	v_and_b32_e32 v25, 0x7fffffff, v7
	v_mov_b32_e32 v24, v6
	v_add_co_u32_e32 v14, vcc, v12, v20
	v_addc_co_u32_e32 v15, vcc, v13, v21, vcc
	v_div_scale_f64 v[20:21], s[0:1], v[24:25], v[24:25], 1.0
	s_waitcnt vmcnt(1)
	v_add_f64 v[36:37], v[26:27], -v[18:19]
	global_load_dwordx2 v[18:19], v[14:15], off
	v_div_scale_f64 v[46:47], vcc, 1.0, v[24:25], 1.0
	v_mul_f64 v[28:29], |v[6:7]|, 0.5
	v_rcp_f64_e32 v[38:39], v[20:21]
	v_fma_f64 v[42:43], -v[20:21], v[38:39], 1.0
	v_fma_f64 v[38:39], v[38:39], v[42:43], v[38:39]
	v_fma_f64 v[44:45], -v[20:21], v[38:39], 1.0
	v_fma_f64 v[38:39], v[38:39], v[44:45], v[38:39]
	v_mul_f64 v[48:49], v[46:47], v[38:39]
	v_fma_f64 v[20:21], -v[20:21], v[48:49], v[46:47]
	s_waitcnt vmcnt(1)
	v_mul_f64 v[32:33], v[32:33], v[32:33]
	v_div_fmas_f64 v[20:21], v[20:21], v[38:39], v[48:49]
	v_div_scale_f64 v[34:35], s[0:1], v[36:37], v[36:37], v[32:33]
	v_rcp_f64_e32 v[40:41], v[34:35]
	v_fma_f64 v[42:43], -v[34:35], v[40:41], 1.0
	v_fma_f64 v[40:41], v[40:41], v[42:43], v[40:41]
	v_div_scale_f64 v[42:43], s[0:1], v[32:33], v[36:37], v[32:33]
	s_mov_b64 vcc, s[0:1]
	v_fma_f64 v[44:45], -v[34:35], v[40:41], 1.0
	v_fma_f64 v[40:41], v[40:41], v[44:45], v[40:41]
	v_mul_f64 v[44:45], v[42:43], v[40:41]
	v_fma_f64 v[34:35], -v[34:35], v[44:45], v[42:43]
	v_div_fmas_f64 v[38:39], v[34:35], v[40:41], v[44:45]
	s_waitcnt vmcnt(0)
	v_mul_f64 v[34:35], v[18:19], v[18:19]
	v_div_fixup_f64 v[18:19], v[20:21], |v[6:7]|, 1.0
	v_add_f64 v[20:21], v[34:35], v[34:35]
	v_add_f64 v[30:31], v[18:19], v[30:31]
	v_div_fixup_f64 v[36:37], v[38:39], v[36:37], v[32:33]
	v_mul_f64 v[20:21], v[18:19], v[20:21]
	v_add_f64 v[36:37], v[30:31], v[36:37]
	v_cmp_ngt_f64_e32 vcc, v[36:37], v[20:21]
	v_add_f64 v[36:37], v[16:17], -v[26:27]
                                        ; implicit-def: $vgpr20_vgpr21
	s_and_saveexec_b64 s[0:1], vcc
	s_xor_b64 s[2:3], exec, s[0:1]
	s_cbranch_execz .LBB47_135
; %bb.128:
	v_add_f64 v[20:21], |v[6:7]|, v[36:37]
	v_div_scale_f64 v[38:39], s[0:1], v[24:25], v[24:25], v[34:35]
	v_div_scale_f64 v[26:27], s[0:1], v[20:21], v[20:21], v[32:33]
	;; [unrolled: 1-line block ×3, first 2 shown]
	v_rcp_f64_e32 v[42:43], v[38:39]
	v_rcp_f64_e32 v[40:41], v[26:27]
	v_fma_f64 v[46:47], -v[38:39], v[42:43], 1.0
	v_fma_f64 v[44:45], -v[26:27], v[40:41], 1.0
	v_fma_f64 v[42:43], v[42:43], v[46:47], v[42:43]
	v_fma_f64 v[40:41], v[40:41], v[44:45], v[40:41]
	v_div_scale_f64 v[44:45], vcc, v[32:33], v[20:21], v[32:33]
	v_fma_f64 v[50:51], -v[38:39], v[42:43], 1.0
	v_fma_f64 v[46:47], -v[26:27], v[40:41], 1.0
	v_fma_f64 v[42:43], v[42:43], v[50:51], v[42:43]
	v_fma_f64 v[40:41], v[40:41], v[46:47], v[40:41]
	v_mul_f64 v[50:51], v[48:49], v[42:43]
	v_mul_f64 v[46:47], v[44:45], v[40:41]
	v_fma_f64 v[38:39], -v[38:39], v[50:51], v[48:49]
	v_fma_f64 v[26:27], -v[26:27], v[46:47], v[44:45]
	v_div_fmas_f64 v[26:27], v[26:27], v[40:41], v[46:47]
	s_mov_b64 vcc, s[0:1]
	v_div_fmas_f64 v[38:39], v[38:39], v[42:43], v[50:51]
	v_div_fixup_f64 v[20:21], v[26:27], v[20:21], v[32:33]
	v_div_fixup_f64 v[26:27], v[38:39], |v[6:7]|, v[34:35]
	v_add_f64 v[20:21], v[20:21], v[26:27]
	v_cmp_nle_f64_e32 vcc, v[30:31], v[20:21]
	v_mov_b32_e32 v20, v24
	v_mov_b32_e32 v21, v25
	s_and_saveexec_b64 s[4:5], vcc
	s_cbranch_execz .LBB47_134
; %bb.129:
	v_mul_f64 v[26:27], v[36:37], v[34:35]
	v_fma_f64 v[20:21], -v[36:37], v[30:31], v[32:33]
	s_mov_b32 s0, 0
	s_brev_b32 s1, 8
	v_mov_b32_e32 v3, 0x100
	v_mov_b32_e32 v23, 0x260
	v_mul_f64 v[36:37], v[26:27], 4.0
	v_add_f64 v[32:33], v[34:35], v[20:21]
	v_mul_f64 v[20:21], v[30:31], v[36:37]
	v_fma_f64 v[20:21], v[32:33], v[32:33], v[20:21]
	v_cmp_gt_f64_e32 vcc, s[0:1], v[20:21]
	v_cmp_ngt_f64_e64 s[0:1], 0, v[32:33]
	v_cndmask_b32_e32 v3, 0, v3, vcc
	v_ldexp_f64 v[20:21], v[20:21], v3
	v_mov_b32_e32 v3, 0xffffff80
	v_cndmask_b32_e32 v3, 0, v3, vcc
	v_rsq_f64_e32 v[34:35], v[20:21]
	v_cmp_class_f64_e32 vcc, v[20:21], v23
	v_mul_f64 v[36:37], v[20:21], v[34:35]
	v_mul_f64 v[34:35], v[34:35], 0.5
	v_fma_f64 v[38:39], -v[34:35], v[36:37], 0.5
	v_fma_f64 v[36:37], v[36:37], v[38:39], v[36:37]
	v_fma_f64 v[34:35], v[34:35], v[38:39], v[34:35]
	v_fma_f64 v[38:39], -v[36:37], v[36:37], v[20:21]
	v_fma_f64 v[36:37], v[38:39], v[34:35], v[36:37]
	v_fma_f64 v[38:39], -v[36:37], v[36:37], v[20:21]
	v_fma_f64 v[34:35], v[38:39], v[34:35], v[36:37]
	v_ldexp_f64 v[34:35], v[34:35], v3
	v_cndmask_b32_e32 v35, v35, v21, vcc
	v_cndmask_b32_e32 v34, v34, v20, vcc
                                        ; implicit-def: $vgpr20_vgpr21
	s_and_saveexec_b64 s[8:9], s[0:1]
	s_xor_b64 s[0:1], exec, s[8:9]
	s_cbranch_execz .LBB47_131
; %bb.130:
	v_add_f64 v[20:21], v[32:33], v[34:35]
	v_add_f64 v[26:27], v[30:31], v[30:31]
	v_div_scale_f64 v[30:31], s[8:9], v[26:27], v[26:27], v[20:21]
	v_div_scale_f64 v[36:37], vcc, v[20:21], v[26:27], v[20:21]
	v_rcp_f64_e32 v[32:33], v[30:31]
	v_fma_f64 v[34:35], -v[30:31], v[32:33], 1.0
	v_fma_f64 v[32:33], v[32:33], v[34:35], v[32:33]
	v_fma_f64 v[34:35], -v[30:31], v[32:33], 1.0
	v_fma_f64 v[32:33], v[32:33], v[34:35], v[32:33]
	v_mul_f64 v[34:35], v[36:37], v[32:33]
	v_fma_f64 v[30:31], -v[30:31], v[34:35], v[36:37]
	v_div_fmas_f64 v[30:31], v[30:31], v[32:33], v[34:35]
                                        ; implicit-def: $vgpr34_vgpr35
                                        ; implicit-def: $vgpr32_vgpr33
	v_div_fixup_f64 v[20:21], v[30:31], v[26:27], v[20:21]
                                        ; implicit-def: $vgpr26_vgpr27
.LBB47_131:
	s_andn2_saveexec_b64 s[0:1], s[0:1]
	s_cbranch_execz .LBB47_133
; %bb.132:
	v_add_f64 v[20:21], v[26:27], v[26:27]
	v_add_f64 v[26:27], v[34:35], -v[32:33]
	v_div_scale_f64 v[30:31], s[8:9], v[26:27], v[26:27], v[20:21]
	v_div_scale_f64 v[36:37], vcc, v[20:21], v[26:27], v[20:21]
	v_rcp_f64_e32 v[32:33], v[30:31]
	v_fma_f64 v[34:35], -v[30:31], v[32:33], 1.0
	v_fma_f64 v[32:33], v[32:33], v[34:35], v[32:33]
	v_fma_f64 v[34:35], -v[30:31], v[32:33], 1.0
	v_fma_f64 v[32:33], v[32:33], v[34:35], v[32:33]
	v_mul_f64 v[34:35], v[36:37], v[32:33]
	v_fma_f64 v[30:31], -v[30:31], v[34:35], v[36:37]
	v_div_fmas_f64 v[30:31], v[30:31], v[32:33], v[34:35]
	v_div_fixup_f64 v[20:21], v[30:31], v[26:27], v[20:21]
.LBB47_133:
	s_or_b64 exec, exec, s[0:1]
.LBB47_134:
	s_or_b64 exec, exec, s[4:5]
                                        ; implicit-def: $vgpr36_vgpr37
                                        ; implicit-def: $vgpr30_vgpr31
                                        ; implicit-def: $vgpr32_vgpr33
                                        ; implicit-def: $vgpr34_vgpr35
.LBB47_135:
	s_or_saveexec_b64 s[2:3], s[2:3]
	v_mov_b32_e32 v26, v28
	v_mov_b32_e32 v27, v29
	s_xor_b64 exec, exec, s[2:3]
	s_cbranch_execz .LBB47_141
; %bb.136:
	v_mul_f64 v[23:24], v[36:37], v[34:35]
	v_fma_f64 v[20:21], -v[36:37], v[30:31], v[32:33]
	s_mov_b32 s0, 0
	s_brev_b32 s1, 8
	v_mov_b32_e32 v3, 0x100
	v_mov_b32_e32 v27, 0x260
	v_mul_f64 v[32:33], v[23:24], 4.0
	v_add_f64 v[25:26], v[34:35], v[20:21]
	v_mul_f64 v[20:21], v[30:31], v[32:33]
	v_fma_f64 v[20:21], v[25:26], v[25:26], v[20:21]
	v_cmp_gt_f64_e32 vcc, s[0:1], v[20:21]
	v_cmp_ngt_f64_e64 s[0:1], 0, v[25:26]
	v_cndmask_b32_e32 v3, 0, v3, vcc
	v_ldexp_f64 v[20:21], v[20:21], v3
	v_mov_b32_e32 v3, 0xffffff80
	v_cndmask_b32_e32 v3, 0, v3, vcc
	v_rsq_f64_e32 v[32:33], v[20:21]
	v_cmp_class_f64_e32 vcc, v[20:21], v27
	v_mul_f64 v[34:35], v[20:21], v[32:33]
	v_mul_f64 v[32:33], v[32:33], 0.5
	v_fma_f64 v[36:37], -v[32:33], v[34:35], 0.5
	v_fma_f64 v[34:35], v[34:35], v[36:37], v[34:35]
	v_fma_f64 v[32:33], v[32:33], v[36:37], v[32:33]
	v_fma_f64 v[36:37], -v[34:35], v[34:35], v[20:21]
	v_fma_f64 v[34:35], v[36:37], v[32:33], v[34:35]
	v_fma_f64 v[36:37], -v[34:35], v[34:35], v[20:21]
	v_fma_f64 v[32:33], v[36:37], v[32:33], v[34:35]
	v_ldexp_f64 v[32:33], v[32:33], v3
	v_cndmask_b32_e32 v33, v33, v21, vcc
	v_cndmask_b32_e32 v32, v32, v20, vcc
                                        ; implicit-def: $vgpr20_vgpr21
	s_and_saveexec_b64 s[4:5], s[0:1]
	s_xor_b64 s[0:1], exec, s[4:5]
	s_cbranch_execz .LBB47_138
; %bb.137:
	v_add_f64 v[20:21], v[25:26], v[32:33]
	v_add_f64 v[23:24], v[30:31], v[30:31]
	v_div_scale_f64 v[25:26], s[4:5], v[23:24], v[23:24], v[20:21]
	v_div_scale_f64 v[34:35], vcc, v[20:21], v[23:24], v[20:21]
	v_rcp_f64_e32 v[30:31], v[25:26]
	v_fma_f64 v[32:33], -v[25:26], v[30:31], 1.0
	v_fma_f64 v[30:31], v[30:31], v[32:33], v[30:31]
	v_fma_f64 v[32:33], -v[25:26], v[30:31], 1.0
	v_fma_f64 v[30:31], v[30:31], v[32:33], v[30:31]
	v_mul_f64 v[32:33], v[34:35], v[30:31]
	v_fma_f64 v[25:26], -v[25:26], v[32:33], v[34:35]
	v_div_fmas_f64 v[25:26], v[25:26], v[30:31], v[32:33]
                                        ; implicit-def: $vgpr32_vgpr33
	v_div_fixup_f64 v[20:21], v[25:26], v[23:24], v[20:21]
                                        ; implicit-def: $vgpr23_vgpr24
                                        ; implicit-def: $vgpr25_vgpr26
.LBB47_138:
	s_andn2_saveexec_b64 s[0:1], s[0:1]
	s_cbranch_execz .LBB47_140
; %bb.139:
	v_add_f64 v[20:21], v[23:24], v[23:24]
	v_add_f64 v[23:24], v[32:33], -v[25:26]
	v_div_scale_f64 v[25:26], s[4:5], v[23:24], v[23:24], v[20:21]
	v_div_scale_f64 v[34:35], vcc, v[20:21], v[23:24], v[20:21]
	v_rcp_f64_e32 v[30:31], v[25:26]
	v_fma_f64 v[32:33], -v[25:26], v[30:31], 1.0
	v_fma_f64 v[30:31], v[30:31], v[32:33], v[30:31]
	v_fma_f64 v[32:33], -v[25:26], v[30:31], 1.0
	v_fma_f64 v[30:31], v[30:31], v[32:33], v[30:31]
	v_mul_f64 v[32:33], v[34:35], v[30:31]
	v_fma_f64 v[25:26], -v[25:26], v[32:33], v[34:35]
	v_div_fmas_f64 v[25:26], v[25:26], v[30:31], v[32:33]
	v_div_fixup_f64 v[20:21], v[25:26], v[23:24], v[20:21]
.LBB47_140:
	s_or_b64 exec, exec, s[0:1]
	v_mov_b32_e32 v26, 0
	v_mov_b32_e32 v24, v28
	;; [unrolled: 1-line block ×4, first 2 shown]
.LBB47_141:
	s_or_b64 exec, exec, s[2:3]
	v_cmp_lt_i32_e64 s[0:1], 1, v22
	v_mov_b32_e32 v23, v17
	v_mov_b32_e32 v22, v16
	s_and_saveexec_b64 s[2:3], s[0:1]
	s_cbranch_execz .LBB47_145
; %bb.142:
	v_mov_b32_e32 v23, v9
	s_mov_b64 s[4:5], 0
	v_mov_b32_e32 v22, v8
	v_mov_b32_e32 v3, v0
.LBB47_143:                             ; =>This Inner Loop Header: Depth=1
	global_load_dwordx2 v[28:29], v[22:23], off
	v_add_u32_e32 v3, -1, v3
	v_cmp_eq_u32_e32 vcc, 0, v3
	s_or_b64 s[4:5], vcc, s[4:5]
	s_waitcnt vmcnt(0)
	v_add_f64 v[28:29], v[28:29], -v[16:17]
	global_store_dwordx2 v[22:23], v[28:29], off
	v_add_co_u32_e32 v22, vcc, 8, v22
	v_addc_co_u32_e32 v23, vcc, 0, v23, vcc
	s_andn2_b64 exec, exec, s[4:5]
	s_cbranch_execnz .LBB47_143
; %bb.144:
	s_or_b64 exec, exec, s[4:5]
	global_load_dwordx2 v[22:23], v[10:11], off
.LBB47_145:
	s_or_b64 exec, exec, s[2:3]
	s_waitcnt vmcnt(0)
	v_add_f64 v[30:31], v[22:23], -v[16:17]
	v_mov_b32_e32 v22, 0
	v_mov_b32_e32 v28, 0
	;; [unrolled: 1-line block ×6, first 2 shown]
	global_store_dwordx2 v[10:11], v[30:31], off
	s_and_saveexec_b64 s[2:3], s[0:1]
	s_cbranch_execz .LBB47_149
; %bb.146:
	v_mov_b32_e32 v22, 0
	v_mov_b32_e32 v31, v13
	;; [unrolled: 1-line block ×6, first 2 shown]
	s_mov_b64 s[4:5], 0
	v_mov_b32_e32 v30, v12
	v_mov_b32_e32 v34, v8
	;; [unrolled: 1-line block ×5, first 2 shown]
.LBB47_147:                             ; =>This Inner Loop Header: Depth=1
	global_load_dwordx2 v[36:37], v[34:35], off
	v_add_u32_e32 v3, -1, v3
	s_waitcnt vmcnt(0)
	v_add_f64 v[36:37], v[36:37], -v[20:21]
	global_store_dwordx2 v[34:35], v[36:37], off
	global_load_dwordx2 v[38:39], v[30:31], off
	s_waitcnt vmcnt(0)
	v_div_scale_f64 v[40:41], s[8:9], v[36:37], v[36:37], v[38:39]
	v_rcp_f64_e32 v[42:43], v[40:41]
	v_fma_f64 v[44:45], -v[40:41], v[42:43], 1.0
	v_fma_f64 v[42:43], v[42:43], v[44:45], v[42:43]
	v_div_scale_f64 v[44:45], vcc, v[38:39], v[36:37], v[38:39]
	v_fma_f64 v[46:47], -v[40:41], v[42:43], 1.0
	v_fma_f64 v[42:43], v[42:43], v[46:47], v[42:43]
	v_mul_f64 v[46:47], v[44:45], v[42:43]
	v_fma_f64 v[40:41], -v[40:41], v[46:47], v[44:45]
	v_div_fmas_f64 v[40:41], v[40:41], v[42:43], v[46:47]
	v_cmp_eq_u32_e32 vcc, 0, v3
	s_or_b64 s[4:5], vcc, s[4:5]
	v_add_co_u32_e32 v34, vcc, 8, v34
	v_addc_co_u32_e32 v35, vcc, 0, v35, vcc
	v_add_co_u32_e32 v30, vcc, 8, v30
	v_addc_co_u32_e32 v31, vcc, 0, v31, vcc
	v_div_fixup_f64 v[36:37], v[40:41], v[36:37], v[38:39]
	v_fma_f64 v[32:33], v[38:39], v[36:37], v[32:33]
	v_fma_f64 v[22:23], v[36:37], v[36:37], v[22:23]
	v_add_f64 v[28:29], v[28:29], v[32:33]
	s_andn2_b64 exec, exec, s[4:5]
	s_cbranch_execnz .LBB47_147
; %bb.148:
	s_or_b64 exec, exec, s[4:5]
	global_load_dwordx2 v[30:31], v[10:11], off
	v_and_b32_e32 v29, 0x7fffffff, v29
.LBB47_149:
	s_or_b64 exec, exec, s[2:3]
	s_waitcnt vmcnt(0)
	v_add_f64 v[30:31], v[30:31], -v[20:21]
	global_store_dwordx2 v[10:11], v[30:31], off
	global_load_dwordx2 v[34:35], v[14:15], off
	s_waitcnt vmcnt(0)
	v_div_scale_f64 v[36:37], s[2:3], v[30:31], v[30:31], v[34:35]
	v_div_scale_f64 v[42:43], vcc, v[34:35], v[30:31], v[34:35]
	v_rcp_f64_e32 v[38:39], v[36:37]
	v_fma_f64 v[40:41], -v[36:37], v[38:39], 1.0
	v_fma_f64 v[38:39], v[38:39], v[40:41], v[38:39]
	v_fma_f64 v[40:41], -v[36:37], v[38:39], 1.0
	v_fma_f64 v[38:39], v[38:39], v[40:41], v[38:39]
	v_mul_f64 v[40:41], v[42:43], v[38:39]
	v_fma_f64 v[36:37], -v[36:37], v[40:41], v[42:43]
	v_div_fmas_f64 v[36:37], v[36:37], v[38:39], v[40:41]
	v_div_fixup_f64 v[36:37], v[36:37], v[30:31], v[34:35]
	v_fma_f64 v[38:39], v[34:35], v[36:37], 0
	v_fma_f64 v[34:35], v[36:37], v[36:37], v[22:23]
	v_add_f64 v[40:41], v[32:33], v[38:39]
	v_add_f64 v[28:29], v[28:29], v[38:39]
	;; [unrolled: 1-line block ×3, first 2 shown]
	v_ldexp_f64 v[40:41], -v[40:41], 3
	v_fma_f64 v[40:41], |v[20:21]|, v[34:35], v[40:41]
	v_add_f64 v[40:41], v[40:41], -v[38:39]
	v_add_f64 v[40:41], v[18:19], v[40:41]
	v_add_f64 v[40:41], v[28:29], v[40:41]
	;; [unrolled: 1-line block ×3, first 2 shown]
	v_mul_f64 v[32:33], s[22:23], v[40:41]
	v_cmp_nle_f64_e64 s[2:3], |v[28:29]|, v[32:33]
	s_and_saveexec_b64 s[8:9], s[2:3]
	s_cbranch_execz .LBB47_191
; %bb.150:
	global_load_dwordx2 v[38:39], v[1:2], off offset:-16
	v_mul_f64 v[32:33], v[36:37], v[36:37]
	v_cmp_lt_f64_e32 vcc, 0, v[28:29]
	v_cmp_lt_f64_e64 s[2:3], v[20:21], v[24:25]
	s_and_b64 vcc, s[2:3], vcc
	s_waitcnt vmcnt(0)
	v_fma_f64 v[22:23], -v[22:23], v[38:39], v[28:29]
	v_fma_f64 v[36:37], -v[30:31], v[32:33], v[22:23]
	v_cndmask_b32_e32 v23, v25, v21, vcc
	v_cndmask_b32_e32 v22, v24, v20, vcc
                                        ; implicit-def: $vgpr32_vgpr33
	v_cmp_neq_f64_e64 s[4:5], 0, v[36:37]
	s_and_saveexec_b64 s[2:3], s[4:5]
	s_xor_b64 s[4:5], exec, s[2:3]
	s_cbranch_execz .LBB47_156
; %bb.151:
	v_mul_f64 v[32:33], v[30:31], v[38:39]
	v_add_f64 v[38:39], v[30:31], v[38:39]
	s_mov_b32 s2, 0
	s_brev_b32 s3, 8
	v_mov_b32_e32 v3, 0x100
	v_mul_f64 v[24:25], v[28:29], v[32:33]
	v_mul_f64 v[32:33], v[34:35], v[32:33]
	v_mul_f64 v[40:41], v[24:25], -4.0
	v_fma_f64 v[38:39], v[28:29], v[38:39], -v[32:33]
	v_mul_f64 v[32:33], v[40:41], |v[36:37]|
	v_fma_f64 v[32:33], v[38:39], v[38:39], v[32:33]
	v_cmp_lt_f64_e64 vcc, |v[32:33]|, s[2:3]
	v_cmp_le_f64_e64 s[2:3], 0, v[38:39]
	v_cndmask_b32_e32 v3, 0, v3, vcc
	v_ldexp_f64 v[32:33], |v[32:33]|, v3
	v_mov_b32_e32 v3, 0xffffff80
	v_cndmask_b32_e32 v3, 0, v3, vcc
	v_rsq_f64_e32 v[40:41], v[32:33]
	v_mul_f64 v[42:43], v[32:33], v[40:41]
	v_mul_f64 v[40:41], v[40:41], 0.5
	v_fma_f64 v[44:45], -v[40:41], v[42:43], 0.5
	v_fma_f64 v[42:43], v[42:43], v[44:45], v[42:43]
	v_fma_f64 v[40:41], v[40:41], v[44:45], v[40:41]
	v_fma_f64 v[44:45], -v[42:43], v[42:43], v[32:33]
	v_fma_f64 v[42:43], v[44:45], v[40:41], v[42:43]
	v_fma_f64 v[44:45], -v[42:43], v[42:43], v[32:33]
	v_fma_f64 v[40:41], v[44:45], v[40:41], v[42:43]
	v_mov_b32_e32 v42, 0x260
	v_cmp_class_f64_e32 vcc, v[32:33], v42
	v_ldexp_f64 v[40:41], v[40:41], v3
	v_cndmask_b32_e32 v41, v41, v33, vcc
	v_cndmask_b32_e32 v40, v40, v32, vcc
                                        ; implicit-def: $vgpr32_vgpr33
	s_and_saveexec_b64 s[10:11], s[2:3]
	s_xor_b64 s[2:3], exec, s[10:11]
	s_cbranch_execz .LBB47_153
; %bb.152:
	v_add_f64 v[24:25], v[38:39], v[40:41]
	v_add_f64 v[32:33], |v[36:37]|, |v[36:37]|
	v_div_scale_f64 v[36:37], s[10:11], v[32:33], v[32:33], v[24:25]
	v_div_scale_f64 v[42:43], vcc, v[24:25], v[32:33], v[24:25]
	v_rcp_f64_e32 v[38:39], v[36:37]
	v_fma_f64 v[40:41], -v[36:37], v[38:39], 1.0
	v_fma_f64 v[38:39], v[38:39], v[40:41], v[38:39]
	v_fma_f64 v[40:41], -v[36:37], v[38:39], 1.0
	v_fma_f64 v[38:39], v[38:39], v[40:41], v[38:39]
	v_mul_f64 v[40:41], v[42:43], v[38:39]
	v_fma_f64 v[36:37], -v[36:37], v[40:41], v[42:43]
	v_div_fmas_f64 v[36:37], v[36:37], v[38:39], v[40:41]
                                        ; implicit-def: $vgpr38_vgpr39
                                        ; implicit-def: $vgpr40_vgpr41
	v_div_fixup_f64 v[32:33], v[36:37], v[32:33], v[24:25]
                                        ; implicit-def: $vgpr24_vgpr25
.LBB47_153:
	s_andn2_saveexec_b64 s[2:3], s[2:3]
	s_cbranch_execz .LBB47_155
; %bb.154:
	v_add_f64 v[24:25], v[24:25], v[24:25]
	v_add_f64 v[32:33], v[38:39], -v[40:41]
	v_div_scale_f64 v[36:37], s[10:11], v[32:33], v[32:33], v[24:25]
	v_div_scale_f64 v[42:43], vcc, v[24:25], v[32:33], v[24:25]
	v_rcp_f64_e32 v[38:39], v[36:37]
	v_fma_f64 v[40:41], -v[36:37], v[38:39], 1.0
	v_fma_f64 v[38:39], v[38:39], v[40:41], v[38:39]
	v_fma_f64 v[40:41], -v[36:37], v[38:39], 1.0
	v_fma_f64 v[38:39], v[38:39], v[40:41], v[38:39]
	v_mul_f64 v[40:41], v[42:43], v[38:39]
	v_fma_f64 v[36:37], -v[36:37], v[40:41], v[42:43]
	v_div_fmas_f64 v[36:37], v[36:37], v[38:39], v[40:41]
	v_div_fixup_f64 v[32:33], v[36:37], v[32:33], v[24:25]
.LBB47_155:
	s_or_b64 exec, exec, s[2:3]
.LBB47_156:
	s_andn2_saveexec_b64 s[2:3], s[4:5]
; %bb.157:
	v_add_f64 v[32:33], v[22:23], -v[20:21]
; %bb.158:
	s_or_b64 exec, exec, s[2:3]
	v_mul_f64 v[24:25], v[28:29], v[32:33]
	v_cmp_lt_f64_e32 vcc, 0, v[24:25]
	s_and_saveexec_b64 s[2:3], vcc
	s_cbranch_execz .LBB47_160
; %bb.159:
	v_div_scale_f64 v[24:25], s[4:5], v[34:35], v[34:35], -v[28:29]
	v_div_scale_f64 v[38:39], vcc, -v[28:29], v[34:35], -v[28:29]
	v_rcp_f64_e32 v[32:33], v[24:25]
	v_fma_f64 v[36:37], -v[24:25], v[32:33], 1.0
	v_fma_f64 v[32:33], v[32:33], v[36:37], v[32:33]
	v_fma_f64 v[36:37], -v[24:25], v[32:33], 1.0
	v_fma_f64 v[32:33], v[32:33], v[36:37], v[32:33]
	v_mul_f64 v[36:37], v[38:39], v[32:33]
	v_fma_f64 v[24:25], -v[24:25], v[36:37], v[38:39]
	v_div_fmas_f64 v[24:25], v[24:25], v[32:33], v[36:37]
	v_div_fixup_f64 v[32:33], v[24:25], v[34:35], -v[28:29]
.LBB47_160:
	s_or_b64 exec, exec, s[2:3]
	v_cmp_lt_f64_e32 vcc, v[26:27], v[20:21]
	v_add_f64 v[34:35], v[20:21], v[32:33]
	v_cndmask_b32_e32 v3, v26, v20, vcc
	v_cndmask_b32_e32 v24, v27, v21, vcc
	v_cmp_nge_f64_e32 vcc, 0, v[28:29]
	v_cndmask_b32_e32 v25, v24, v27, vcc
	v_cndmask_b32_e32 v24, v3, v26, vcc
	v_cmp_gt_f64_e32 vcc, v[34:35], v[22:23]
	v_cmp_lt_f64_e64 s[2:3], v[34:35], v[24:25]
	s_or_b64 s[4:5], vcc, s[2:3]
	s_and_saveexec_b64 s[2:3], s[4:5]
	s_cbranch_execz .LBB47_166
; %bb.161:
	v_cmp_ngt_f64_e32 vcc, 0, v[28:29]
                                        ; implicit-def: $vgpr32_vgpr33
	s_and_saveexec_b64 s[4:5], vcc
	s_xor_b64 s[4:5], exec, s[4:5]
	s_cbranch_execz .LBB47_163
; %bb.162:
	v_add_f64 v[26:27], v[24:25], -v[20:21]
	v_mul_f64 v[32:33], v[26:27], 0.5
.LBB47_163:
	s_andn2_saveexec_b64 s[4:5], s[4:5]
	s_cbranch_execz .LBB47_165
; %bb.164:
	v_add_f64 v[26:27], v[22:23], -v[20:21]
	v_mul_f64 v[32:33], v[26:27], 0.5
.LBB47_165:
	s_or_b64 exec, exec, s[4:5]
.LBB47_166:
	s_or_b64 exec, exec, s[2:3]
	v_mov_b32_e32 v28, 0
	v_mov_b32_e32 v34, 0
	v_mov_b32_e32 v36, 0
	v_mov_b32_e32 v29, 0
	v_mov_b32_e32 v35, 0
	v_mov_b32_e32 v37, 0
	s_and_saveexec_b64 s[2:3], s[0:1]
	s_cbranch_execz .LBB47_170
; %bb.167:
	v_mov_b32_e32 v28, 0
	v_mov_b32_e32 v27, v13
	v_mov_b32_e32 v31, v9
	v_mov_b32_e32 v34, 0
	v_mov_b32_e32 v36, 0
	v_mov_b32_e32 v29, 0
	s_mov_b64 s[4:5], 0
	v_mov_b32_e32 v26, v12
	v_mov_b32_e32 v30, v8
	;; [unrolled: 1-line block ×5, first 2 shown]
.LBB47_168:                             ; =>This Inner Loop Header: Depth=1
	global_load_dwordx2 v[38:39], v[30:31], off
	v_add_u32_e32 v3, -1, v3
	s_waitcnt vmcnt(0)
	v_add_f64 v[38:39], v[38:39], -v[32:33]
	global_store_dwordx2 v[30:31], v[38:39], off
	global_load_dwordx2 v[40:41], v[26:27], off
	s_waitcnt vmcnt(0)
	v_div_scale_f64 v[42:43], s[10:11], v[38:39], v[38:39], v[40:41]
	v_rcp_f64_e32 v[44:45], v[42:43]
	v_fma_f64 v[46:47], -v[42:43], v[44:45], 1.0
	v_fma_f64 v[44:45], v[44:45], v[46:47], v[44:45]
	v_div_scale_f64 v[46:47], vcc, v[40:41], v[38:39], v[40:41]
	v_fma_f64 v[48:49], -v[42:43], v[44:45], 1.0
	v_fma_f64 v[44:45], v[44:45], v[48:49], v[44:45]
	v_mul_f64 v[48:49], v[46:47], v[44:45]
	v_fma_f64 v[42:43], -v[42:43], v[48:49], v[46:47]
	v_div_fmas_f64 v[42:43], v[42:43], v[44:45], v[48:49]
	v_cmp_eq_u32_e32 vcc, 0, v3
	s_or_b64 s[4:5], vcc, s[4:5]
	v_add_co_u32_e32 v30, vcc, 8, v30
	v_addc_co_u32_e32 v31, vcc, 0, v31, vcc
	v_add_co_u32_e32 v26, vcc, 8, v26
	v_addc_co_u32_e32 v27, vcc, 0, v27, vcc
	v_div_fixup_f64 v[38:39], v[42:43], v[38:39], v[40:41]
	v_fma_f64 v[36:37], v[40:41], v[38:39], v[36:37]
	v_fma_f64 v[28:29], v[38:39], v[38:39], v[28:29]
	v_add_f64 v[34:35], v[34:35], v[36:37]
	s_andn2_b64 exec, exec, s[4:5]
	s_cbranch_execnz .LBB47_168
; %bb.169:
	s_or_b64 exec, exec, s[4:5]
	global_load_dwordx2 v[30:31], v[10:11], off
	v_and_b32_e32 v35, 0x7fffffff, v35
.LBB47_170:
	s_or_b64 exec, exec, s[2:3]
	s_waitcnt vmcnt(0)
	v_add_f64 v[26:27], v[30:31], -v[32:33]
	v_add_f64 v[20:21], v[20:21], v[32:33]
	s_mov_b64 s[12:13], 0
	global_store_dwordx2 v[10:11], v[26:27], off
	global_load_dwordx2 v[38:39], v[14:15], off
	s_waitcnt vmcnt(0)
	v_div_scale_f64 v[30:31], s[2:3], v[26:27], v[26:27], v[38:39]
	v_div_scale_f64 v[44:45], vcc, v[38:39], v[26:27], v[38:39]
	v_rcp_f64_e32 v[40:41], v[30:31]
	v_fma_f64 v[42:43], -v[30:31], v[40:41], 1.0
	v_fma_f64 v[40:41], v[40:41], v[42:43], v[40:41]
	v_fma_f64 v[42:43], -v[30:31], v[40:41], 1.0
	v_fma_f64 v[40:41], v[40:41], v[42:43], v[40:41]
	v_mul_f64 v[42:43], v[44:45], v[40:41]
	v_fma_f64 v[30:31], -v[30:31], v[42:43], v[44:45]
	v_div_fmas_f64 v[30:31], v[30:31], v[40:41], v[42:43]
	v_div_fixup_f64 v[30:31], v[30:31], v[26:27], v[38:39]
	v_fma_f64 v[38:39], v[38:39], v[30:31], 0
	v_fma_f64 v[32:33], v[30:31], v[30:31], v[28:29]
	v_add_f64 v[40:41], v[36:37], v[38:39]
	v_add_f64 v[34:35], v[34:35], v[38:39]
	;; [unrolled: 1-line block ×3, first 2 shown]
	v_ldexp_f64 v[40:41], -v[40:41], 3
	v_fma_f64 v[32:33], |v[20:21]|, v[32:33], v[40:41]
	v_add_f64 v[32:33], v[32:33], -v[38:39]
	v_add_f64 v[32:33], v[18:19], v[32:33]
	v_add_f64 v[34:35], v[34:35], v[32:33]
	;; [unrolled: 1-line block ×3, first 2 shown]
	v_mul_f64 v[34:35], s[22:23], v[34:35]
	v_cmp_nle_f64_e64 s[2:3], |v[32:33]|, v[34:35]
	s_and_saveexec_b64 s[10:11], s[2:3]
	s_cbranch_execz .LBB47_190
; %bb.171:
	v_mul_f64 v[30:31], v[30:31], v[30:31]
	s_mov_b32 s14, 0
	s_mov_b32 s16, 1
	s_brev_b32 s15, 8
	v_mov_b32_e32 v3, 0x260
	v_mov_b32_e32 v42, 0x100
	;; [unrolled: 1-line block ×3, first 2 shown]
	s_branch .LBB47_173
.LBB47_172:                             ;   in Loop: Header=BB47_173 Depth=1
	s_or_b64 exec, exec, s[2:3]
	s_waitcnt vmcnt(0)
	v_add_f64 v[26:27], v[26:27], -v[30:31]
	v_add_f64 v[20:21], v[20:21], v[30:31]
	s_add_i32 s17, s16, 1
	s_cmp_gt_u32 s16, 48
	s_cselect_b64 s[4:5], -1, 0
	s_mov_b32 s16, s17
	global_store_dwordx2 v[10:11], v[26:27], off
	global_load_dwordx2 v[36:37], v[14:15], off
	s_waitcnt vmcnt(0)
	v_div_scale_f64 v[38:39], s[2:3], v[26:27], v[26:27], v[36:37]
	v_div_scale_f64 v[46:47], vcc, v[36:37], v[26:27], v[36:37]
	v_rcp_f64_e32 v[40:41], v[38:39]
	v_fma_f64 v[44:45], -v[38:39], v[40:41], 1.0
	v_fma_f64 v[40:41], v[40:41], v[44:45], v[40:41]
	v_fma_f64 v[44:45], -v[38:39], v[40:41], 1.0
	v_fma_f64 v[40:41], v[40:41], v[44:45], v[40:41]
	v_mul_f64 v[44:45], v[46:47], v[40:41]
	v_fma_f64 v[38:39], -v[38:39], v[44:45], v[46:47]
	v_div_fmas_f64 v[38:39], v[38:39], v[40:41], v[44:45]
	v_div_fixup_f64 v[38:39], v[38:39], v[26:27], v[36:37]
	v_fma_f64 v[36:37], v[36:37], v[38:39], 0
	v_fma_f64 v[30:31], v[38:39], v[38:39], v[28:29]
	v_add_f64 v[40:41], v[34:35], v[36:37]
	v_add_f64 v[32:33], v[32:33], v[36:37]
	;; [unrolled: 1-line block ×3, first 2 shown]
	v_ldexp_f64 v[40:41], -v[40:41], 3
	v_fma_f64 v[30:31], |v[20:21]|, v[30:31], v[40:41]
	v_add_f64 v[30:31], v[30:31], -v[36:37]
	v_add_f64 v[30:31], v[18:19], v[30:31]
	v_add_f64 v[30:31], v[32:33], v[30:31]
	;; [unrolled: 1-line block ×3, first 2 shown]
	v_mul_f64 v[30:31], s[22:23], v[30:31]
	v_cmp_le_f64_e64 s[2:3], |v[32:33]|, v[30:31]
	v_mul_f64 v[30:31], v[38:39], v[38:39]
	s_or_b64 s[2:3], s[4:5], s[2:3]
	s_and_b64 s[2:3], exec, s[2:3]
	s_or_b64 s[12:13], s[2:3], s[12:13]
	s_andn2_b64 exec, exec, s[12:13]
	s_cbranch_execz .LBB47_189
.LBB47_173:                             ; =>This Loop Header: Depth=1
                                        ;     Child Loop BB47_187 Depth 2
	global_load_dwordx2 v[36:37], v[1:2], off offset:-16
	s_waitcnt vmcnt(0)
	v_mul_f64 v[40:41], v[26:27], v[36:37]
	v_fma_f64 v[38:39], -v[28:29], v[36:37], v[32:33]
	v_add_f64 v[28:29], v[30:31], v[28:29]
	v_add_f64 v[36:37], v[26:27], v[36:37]
	v_mul_f64 v[34:35], v[32:33], v[40:41]
	v_fma_f64 v[38:39], -v[26:27], v[30:31], v[38:39]
	v_mul_f64 v[30:31], v[28:29], v[40:41]
	v_mul_f64 v[40:41], v[34:35], -4.0
	v_fma_f64 v[36:37], v[32:33], v[36:37], -v[30:31]
	v_mul_f64 v[30:31], v[40:41], v[38:39]
	v_cmp_le_f64_e64 s[2:3], 0, v[36:37]
	v_fma_f64 v[30:31], v[36:37], v[36:37], v[30:31]
	v_cmp_lt_f64_e64 vcc, |v[30:31]|, s[14:15]
	v_cndmask_b32_e32 v40, 0, v42, vcc
	v_ldexp_f64 v[30:31], |v[30:31]|, v40
	v_rsq_f64_e32 v[40:41], v[30:31]
	v_mul_f64 v[44:45], v[30:31], v[40:41]
	v_mul_f64 v[40:41], v[40:41], 0.5
	v_fma_f64 v[46:47], -v[40:41], v[44:45], 0.5
	v_fma_f64 v[44:45], v[44:45], v[46:47], v[44:45]
	v_fma_f64 v[40:41], v[40:41], v[46:47], v[40:41]
	v_fma_f64 v[46:47], -v[44:45], v[44:45], v[30:31]
	v_fma_f64 v[44:45], v[46:47], v[40:41], v[44:45]
	v_fma_f64 v[46:47], -v[44:45], v[44:45], v[30:31]
	v_fma_f64 v[40:41], v[46:47], v[40:41], v[44:45]
	v_cndmask_b32_e32 v44, 0, v43, vcc
	v_cmp_class_f64_e32 vcc, v[30:31], v3
	v_ldexp_f64 v[40:41], v[40:41], v44
	v_cndmask_b32_e32 v41, v41, v31, vcc
	v_cndmask_b32_e32 v40, v40, v30, vcc
                                        ; implicit-def: $vgpr30_vgpr31
	s_and_saveexec_b64 s[4:5], s[2:3]
	s_xor_b64 s[2:3], exec, s[4:5]
	s_cbranch_execz .LBB47_175
; %bb.174:                              ;   in Loop: Header=BB47_173 Depth=1
	v_add_f64 v[30:31], v[36:37], v[40:41]
	v_add_f64 v[34:35], v[38:39], v[38:39]
	v_div_scale_f64 v[36:37], s[4:5], v[34:35], v[34:35], v[30:31]
	v_div_scale_f64 v[44:45], vcc, v[30:31], v[34:35], v[30:31]
	v_rcp_f64_e32 v[38:39], v[36:37]
	v_fma_f64 v[40:41], -v[36:37], v[38:39], 1.0
	v_fma_f64 v[38:39], v[38:39], v[40:41], v[38:39]
	v_fma_f64 v[40:41], -v[36:37], v[38:39], 1.0
	v_fma_f64 v[38:39], v[38:39], v[40:41], v[38:39]
	v_mul_f64 v[40:41], v[44:45], v[38:39]
	v_fma_f64 v[36:37], -v[36:37], v[40:41], v[44:45]
	v_div_fmas_f64 v[36:37], v[36:37], v[38:39], v[40:41]
                                        ; implicit-def: $vgpr40_vgpr41
	v_div_fixup_f64 v[30:31], v[36:37], v[34:35], v[30:31]
                                        ; implicit-def: $vgpr34_vgpr35
                                        ; implicit-def: $vgpr36_vgpr37
.LBB47_175:                             ;   in Loop: Header=BB47_173 Depth=1
	s_andn2_saveexec_b64 s[2:3], s[2:3]
	s_cbranch_execz .LBB47_177
; %bb.176:                              ;   in Loop: Header=BB47_173 Depth=1
	v_add_f64 v[30:31], v[34:35], v[34:35]
	v_add_f64 v[34:35], v[36:37], -v[40:41]
	v_div_scale_f64 v[36:37], s[4:5], v[34:35], v[34:35], v[30:31]
	v_div_scale_f64 v[44:45], vcc, v[30:31], v[34:35], v[30:31]
	v_rcp_f64_e32 v[38:39], v[36:37]
	v_fma_f64 v[40:41], -v[36:37], v[38:39], 1.0
	v_fma_f64 v[38:39], v[38:39], v[40:41], v[38:39]
	v_fma_f64 v[40:41], -v[36:37], v[38:39], 1.0
	v_fma_f64 v[38:39], v[38:39], v[40:41], v[38:39]
	v_mul_f64 v[40:41], v[44:45], v[38:39]
	v_fma_f64 v[36:37], -v[36:37], v[40:41], v[44:45]
	v_div_fmas_f64 v[36:37], v[36:37], v[38:39], v[40:41]
	v_div_fixup_f64 v[30:31], v[36:37], v[34:35], v[30:31]
.LBB47_177:                             ;   in Loop: Header=BB47_173 Depth=1
	s_or_b64 exec, exec, s[2:3]
	v_mul_f64 v[34:35], v[32:33], v[30:31]
	v_cmp_lt_f64_e32 vcc, 0, v[34:35]
	s_and_saveexec_b64 s[2:3], vcc
	s_cbranch_execz .LBB47_179
; %bb.178:                              ;   in Loop: Header=BB47_173 Depth=1
	v_div_scale_f64 v[30:31], s[4:5], v[28:29], v[28:29], -v[32:33]
	v_div_scale_f64 v[38:39], vcc, -v[32:33], v[28:29], -v[32:33]
	v_rcp_f64_e32 v[34:35], v[30:31]
	v_fma_f64 v[36:37], -v[30:31], v[34:35], 1.0
	v_fma_f64 v[34:35], v[34:35], v[36:37], v[34:35]
	v_fma_f64 v[36:37], -v[30:31], v[34:35], 1.0
	v_fma_f64 v[34:35], v[34:35], v[36:37], v[34:35]
	v_mul_f64 v[36:37], v[38:39], v[34:35]
	v_fma_f64 v[30:31], -v[30:31], v[36:37], v[38:39]
	v_div_fmas_f64 v[30:31], v[30:31], v[34:35], v[36:37]
	v_div_fixup_f64 v[30:31], v[30:31], v[28:29], -v[32:33]
.LBB47_179:                             ;   in Loop: Header=BB47_173 Depth=1
	s_or_b64 exec, exec, s[2:3]
	v_cmp_lt_f64_e32 vcc, v[24:25], v[20:21]
	v_cmp_lt_f64_e64 s[2:3], 0, v[32:33]
	v_cmp_lt_f64_e64 s[4:5], v[20:21], v[22:23]
	v_add_f64 v[28:29], v[20:21], v[30:31]
	v_cndmask_b32_e32 v34, v24, v20, vcc
	v_cndmask_b32_e32 v35, v25, v21, vcc
	v_cmp_nge_f64_e32 vcc, 0, v[32:33]
	s_and_b64 s[2:3], s[2:3], s[4:5]
	v_cndmask_b32_e64 v23, v23, v21, s[2:3]
	v_cndmask_b32_e64 v22, v22, v20, s[2:3]
	v_cndmask_b32_e32 v25, v35, v25, vcc
	v_cndmask_b32_e32 v24, v34, v24, vcc
	v_cmp_gt_f64_e32 vcc, v[28:29], v[22:23]
	v_cmp_lt_f64_e64 s[2:3], v[28:29], v[24:25]
	s_or_b64 s[4:5], vcc, s[2:3]
	s_and_saveexec_b64 s[2:3], s[4:5]
	s_cbranch_execz .LBB47_185
; %bb.180:                              ;   in Loop: Header=BB47_173 Depth=1
	v_cmp_ngt_f64_e32 vcc, 0, v[32:33]
                                        ; implicit-def: $vgpr30_vgpr31
	s_and_saveexec_b64 s[4:5], vcc
	s_xor_b64 s[4:5], exec, s[4:5]
	s_cbranch_execz .LBB47_182
; %bb.181:                              ;   in Loop: Header=BB47_173 Depth=1
	v_add_f64 v[28:29], v[24:25], -v[20:21]
	v_mul_f64 v[30:31], v[28:29], 0.5
.LBB47_182:                             ;   in Loop: Header=BB47_173 Depth=1
	s_andn2_saveexec_b64 s[4:5], s[4:5]
	s_cbranch_execz .LBB47_184
; %bb.183:                              ;   in Loop: Header=BB47_173 Depth=1
	v_add_f64 v[28:29], v[22:23], -v[20:21]
	v_mul_f64 v[30:31], v[28:29], 0.5
.LBB47_184:                             ;   in Loop: Header=BB47_173 Depth=1
	s_or_b64 exec, exec, s[4:5]
.LBB47_185:                             ;   in Loop: Header=BB47_173 Depth=1
	s_or_b64 exec, exec, s[2:3]
	v_mov_b32_e32 v28, 0
	v_mov_b32_e32 v32, 0
	;; [unrolled: 1-line block ×6, first 2 shown]
	s_and_saveexec_b64 s[2:3], s[0:1]
	s_cbranch_execz .LBB47_172
; %bb.186:                              ;   in Loop: Header=BB47_173 Depth=1
	v_mov_b32_e32 v28, 0
	v_mov_b32_e32 v27, v13
	;; [unrolled: 1-line block ×6, first 2 shown]
	s_mov_b64 s[4:5], 0
	v_mov_b32_e32 v26, v12
	v_mov_b32_e32 v36, v8
	;; [unrolled: 1-line block ×5, first 2 shown]
.LBB47_187:                             ;   Parent Loop BB47_173 Depth=1
                                        ; =>  This Inner Loop Header: Depth=2
	global_load_dwordx2 v[39:40], v[36:37], off
	v_add_u32_e32 v38, -1, v38
	s_waitcnt vmcnt(0)
	v_add_f64 v[39:40], v[39:40], -v[30:31]
	global_store_dwordx2 v[36:37], v[39:40], off
	global_load_dwordx2 v[44:45], v[26:27], off
	s_waitcnt vmcnt(0)
	v_div_scale_f64 v[46:47], s[18:19], v[39:40], v[39:40], v[44:45]
	v_rcp_f64_e32 v[48:49], v[46:47]
	v_fma_f64 v[50:51], -v[46:47], v[48:49], 1.0
	v_fma_f64 v[48:49], v[48:49], v[50:51], v[48:49]
	v_div_scale_f64 v[50:51], vcc, v[44:45], v[39:40], v[44:45]
	v_fma_f64 v[52:53], -v[46:47], v[48:49], 1.0
	v_fma_f64 v[48:49], v[48:49], v[52:53], v[48:49]
	v_mul_f64 v[52:53], v[50:51], v[48:49]
	v_fma_f64 v[46:47], -v[46:47], v[52:53], v[50:51]
	v_div_fmas_f64 v[46:47], v[46:47], v[48:49], v[52:53]
	v_cmp_eq_u32_e32 vcc, 0, v38
	s_or_b64 s[4:5], vcc, s[4:5]
	v_add_co_u32_e32 v36, vcc, 8, v36
	v_addc_co_u32_e32 v37, vcc, 0, v37, vcc
	v_add_co_u32_e32 v26, vcc, 8, v26
	v_addc_co_u32_e32 v27, vcc, 0, v27, vcc
	v_div_fixup_f64 v[39:40], v[46:47], v[39:40], v[44:45]
	v_fma_f64 v[34:35], v[44:45], v[39:40], v[34:35]
	v_fma_f64 v[28:29], v[39:40], v[39:40], v[28:29]
	v_add_f64 v[32:33], v[32:33], v[34:35]
	s_andn2_b64 exec, exec, s[4:5]
	s_cbranch_execnz .LBB47_187
; %bb.188:                              ;   in Loop: Header=BB47_173 Depth=1
	s_or_b64 exec, exec, s[4:5]
	global_load_dwordx2 v[26:27], v[10:11], off
	v_and_b32_e32 v33, 0x7fffffff, v33
	s_branch .LBB47_172
.LBB47_189:
	s_or_b64 exec, exec, s[12:13]
.LBB47_190:
	s_or_b64 exec, exec, s[10:11]
.LBB47_191:
	s_or_b64 exec, exec, s[8:9]
	v_add_f64 v[1:2], v[16:17], v[20:21]
.LBB47_192:
	s_or_b64 exec, exec, s[6:7]
	s_waitcnt vmcnt(1)
	v_cmp_gt_f64_e32 vcc, 0, v[6:7]
	v_mov_b32_e32 v0, s40
	v_add_co_u32_e64 v3, s[0:1], s33, v4
	v_addc_co_u32_e64 v4, s[0:1], v0, v5, s[0:1]
	global_store_dwordx2 v[3:4], v[1:2], off
	s_and_b64 exec, exec, vcc
	s_cbranch_execz .LBB47_194
; %bb.193:
	v_xor_b32_e32 v2, 0x80000000, v2
	global_store_dwordx2 v[3:4], v[1:2], off
.LBB47_194:
	s_endpgm
	.section	.rodata,"a",@progbits
	.p2align	6, 0x0
	.amdhsa_kernel _ZN9rocsolver6v33100L30stedc_mergeValues_Solve_kernelIdEEviiPT_lS3_lS3_S3_PiS2_S2_S2_
		.amdhsa_group_segment_fixed_size 0
		.amdhsa_private_segment_fixed_size 0
		.amdhsa_kernarg_size 344
		.amdhsa_user_sgpr_count 6
		.amdhsa_user_sgpr_private_segment_buffer 1
		.amdhsa_user_sgpr_dispatch_ptr 0
		.amdhsa_user_sgpr_queue_ptr 0
		.amdhsa_user_sgpr_kernarg_segment_ptr 1
		.amdhsa_user_sgpr_dispatch_id 0
		.amdhsa_user_sgpr_flat_scratch_init 0
		.amdhsa_user_sgpr_private_segment_size 0
		.amdhsa_uses_dynamic_stack 0
		.amdhsa_system_sgpr_private_segment_wavefront_offset 0
		.amdhsa_system_sgpr_workgroup_id_x 1
		.amdhsa_system_sgpr_workgroup_id_y 1
		.amdhsa_system_sgpr_workgroup_id_z 0
		.amdhsa_system_sgpr_workgroup_info 0
		.amdhsa_system_vgpr_workitem_id 0
		.amdhsa_next_free_vgpr 75
		.amdhsa_next_free_sgpr 42
		.amdhsa_reserve_vcc 1
		.amdhsa_reserve_flat_scratch 0
		.amdhsa_float_round_mode_32 0
		.amdhsa_float_round_mode_16_64 0
		.amdhsa_float_denorm_mode_32 3
		.amdhsa_float_denorm_mode_16_64 3
		.amdhsa_dx10_clamp 1
		.amdhsa_ieee_mode 1
		.amdhsa_fp16_overflow 0
		.amdhsa_exception_fp_ieee_invalid_op 0
		.amdhsa_exception_fp_denorm_src 0
		.amdhsa_exception_fp_ieee_div_zero 0
		.amdhsa_exception_fp_ieee_overflow 0
		.amdhsa_exception_fp_ieee_underflow 0
		.amdhsa_exception_fp_ieee_inexact 0
		.amdhsa_exception_int_div_zero 0
	.end_amdhsa_kernel
	.section	.text._ZN9rocsolver6v33100L30stedc_mergeValues_Solve_kernelIdEEviiPT_lS3_lS3_S3_PiS2_S2_S2_,"axG",@progbits,_ZN9rocsolver6v33100L30stedc_mergeValues_Solve_kernelIdEEviiPT_lS3_lS3_S3_PiS2_S2_S2_,comdat
.Lfunc_end47:
	.size	_ZN9rocsolver6v33100L30stedc_mergeValues_Solve_kernelIdEEviiPT_lS3_lS3_S3_PiS2_S2_S2_, .Lfunc_end47-_ZN9rocsolver6v33100L30stedc_mergeValues_Solve_kernelIdEEviiPT_lS3_lS3_S3_PiS2_S2_S2_
                                        ; -- End function
	.set _ZN9rocsolver6v33100L30stedc_mergeValues_Solve_kernelIdEEviiPT_lS3_lS3_S3_PiS2_S2_S2_.num_vgpr, 75
	.set _ZN9rocsolver6v33100L30stedc_mergeValues_Solve_kernelIdEEviiPT_lS3_lS3_S3_PiS2_S2_S2_.num_agpr, 0
	.set _ZN9rocsolver6v33100L30stedc_mergeValues_Solve_kernelIdEEviiPT_lS3_lS3_S3_PiS2_S2_S2_.numbered_sgpr, 42
	.set _ZN9rocsolver6v33100L30stedc_mergeValues_Solve_kernelIdEEviiPT_lS3_lS3_S3_PiS2_S2_S2_.num_named_barrier, 0
	.set _ZN9rocsolver6v33100L30stedc_mergeValues_Solve_kernelIdEEviiPT_lS3_lS3_S3_PiS2_S2_S2_.private_seg_size, 0
	.set _ZN9rocsolver6v33100L30stedc_mergeValues_Solve_kernelIdEEviiPT_lS3_lS3_S3_PiS2_S2_S2_.uses_vcc, 1
	.set _ZN9rocsolver6v33100L30stedc_mergeValues_Solve_kernelIdEEviiPT_lS3_lS3_S3_PiS2_S2_S2_.uses_flat_scratch, 0
	.set _ZN9rocsolver6v33100L30stedc_mergeValues_Solve_kernelIdEEviiPT_lS3_lS3_S3_PiS2_S2_S2_.has_dyn_sized_stack, 0
	.set _ZN9rocsolver6v33100L30stedc_mergeValues_Solve_kernelIdEEviiPT_lS3_lS3_S3_PiS2_S2_S2_.has_recursion, 0
	.set _ZN9rocsolver6v33100L30stedc_mergeValues_Solve_kernelIdEEviiPT_lS3_lS3_S3_PiS2_S2_S2_.has_indirect_call, 0
	.section	.AMDGPU.csdata,"",@progbits
; Kernel info:
; codeLenInByte = 13540
; TotalNumSgprs: 46
; NumVgprs: 75
; ScratchSize: 0
; MemoryBound: 1
; FloatMode: 240
; IeeeMode: 1
; LDSByteSize: 0 bytes/workgroup (compile time only)
; SGPRBlocks: 5
; VGPRBlocks: 18
; NumSGPRsForWavesPerEU: 46
; NumVGPRsForWavesPerEU: 75
; Occupancy: 3
; WaveLimiterHint : 1
; COMPUTE_PGM_RSRC2:SCRATCH_EN: 0
; COMPUTE_PGM_RSRC2:USER_SGPR: 6
; COMPUTE_PGM_RSRC2:TRAP_HANDLER: 0
; COMPUTE_PGM_RSRC2:TGID_X_EN: 1
; COMPUTE_PGM_RSRC2:TGID_Y_EN: 1
; COMPUTE_PGM_RSRC2:TGID_Z_EN: 0
; COMPUTE_PGM_RSRC2:TIDIG_COMP_CNT: 0
	.section	.text._ZN9rocsolver6v33100L32stedc_mergeValues_Rescale_kernelIdEEviiPT_lS3_lS3_S3_PiS2_S2_S2_,"axG",@progbits,_ZN9rocsolver6v33100L32stedc_mergeValues_Rescale_kernelIdEEviiPT_lS3_lS3_S3_PiS2_S2_S2_,comdat
	.globl	_ZN9rocsolver6v33100L32stedc_mergeValues_Rescale_kernelIdEEviiPT_lS3_lS3_S3_PiS2_S2_S2_ ; -- Begin function _ZN9rocsolver6v33100L32stedc_mergeValues_Rescale_kernelIdEEviiPT_lS3_lS3_S3_PiS2_S2_S2_
	.p2align	8
	.type	_ZN9rocsolver6v33100L32stedc_mergeValues_Rescale_kernelIdEEviiPT_lS3_lS3_S3_PiS2_S2_S2_,@function
_ZN9rocsolver6v33100L32stedc_mergeValues_Rescale_kernelIdEEviiPT_lS3_lS3_S3_PiS2_S2_S2_: ; @_ZN9rocsolver6v33100L32stedc_mergeValues_Rescale_kernelIdEEviiPT_lS3_lS3_S3_PiS2_S2_S2_
; %bb.0:
	s_load_dword s2, s[4:5], 0x4
	s_load_dwordx2 s[8:9], s[4:5], 0x38
	s_mov_b32 s0, s7
	s_waitcnt lgkmcnt(0)
	s_mul_i32 s14, s2, s7
	s_mul_i32 s10, s14, 13
	s_ashr_i32 s11, s10, 31
	s_ashr_i32 s3, s2, 31
	s_lshl_b64 s[10:11], s[10:11], 2
	s_add_u32 s1, s8, s10
	s_mul_i32 s8, s2, 6
	s_addc_u32 s7, s9, s11
	s_ashr_i32 s9, s8, 31
	s_lshl_b64 s[8:9], s[8:9], 2
	s_add_u32 s1, s1, s8
	s_addc_u32 s11, s7, s9
	s_lshl_b64 s[8:9], s[2:3], 2
	s_add_u32 s3, s1, s8
	s_addc_u32 s12, s11, s9
	s_ashr_i32 s7, s6, 31
	s_lshl_b64 s[8:9], s[6:7], 2
	s_add_u32 s10, s1, s8
	s_addc_u32 s11, s11, s9
	s_add_u32 s8, s3, s8
	s_addc_u32 s9, s12, s9
	s_load_dword s3, s[10:11], 0x0
	s_load_dword s15, s[8:9], 0x0
	s_waitcnt lgkmcnt(0)
	s_sub_i32 s1, s6, s3
	s_cmp_ge_i32 s1, s15
	s_cbranch_scc1 .LBB48_17
; %bb.1:
	s_load_dwordx4 s[8:11], s[4:5], 0x28
	v_cmp_le_i32_e32 vcc, s15, v0
                                        ; implicit-def: $sgpr1
	s_and_saveexec_b64 s[12:13], vcc
	s_xor_b64 s[12:13], exec, s[12:13]
; %bb.2:
	s_load_dword s1, s[4:5], 0x64
; %bb.3:
	s_or_saveexec_b64 s[12:13], s[12:13]
	v_mov_b32_e32 v1, 0
	v_mov_b32_e32 v2, 0x3ff00000
	s_waitcnt lgkmcnt(0)
	v_mov_b32_e32 v4, s1
	s_xor_b64 exec, exec, s[12:13]
	s_cbranch_execz .LBB48_9
; %bb.4:
	s_load_dwordx4 s[20:23], s[4:5], 0x8
	s_load_dword s16, s[4:5], 0x64
	s_ashr_i32 s1, s0, 31
	v_add_u32_e32 v1, s3, v0
	v_mul_lo_u32 v1, s2, v1
	s_waitcnt lgkmcnt(0)
	s_mul_hi_u32 s4, s22, s0
	s_mul_i32 s1, s22, s1
	s_mul_i32 s5, s23, s0
	s_add_i32 s1, s4, s1
	s_add_i32 s1, s1, s5
	s_mul_i32 s0, s22, s0
	s_lshl_b64 s[0:1], s[0:1], 3
	s_add_u32 s17, s20, s0
	s_mul_i32 s0, s14, s2
	s_addc_u32 s18, s21, s1
	s_lshl_b32 s0, s0, 1
	s_ashr_i32 s1, s0, 31
	s_lshl_b64 s[0:1], s[0:1], 3
	s_add_u32 s4, s10, s0
	s_addc_u32 s5, s11, s1
	s_mul_i32 s0, s2, s2
	s_mov_b32 s1, 0
	s_lshl_b64 s[0:1], s[0:1], 3
	s_add_u32 s19, s4, s0
	s_addc_u32 s10, s5, s1
	s_lshl_b64 s[0:1], s[6:7], 3
	s_add_u32 s0, s17, s0
	v_add_u32_e32 v1, s6, v1
	s_addc_u32 s1, s18, s1
	s_and_b32 s20, s16, 0xffff
	v_subrev_u32_e32 v3, s3, v1
	v_mov_b32_e32 v1, 0
	s_sub_i32 s21, s3, s6
	s_mul_i32 s22, s2, s20
	v_mov_b32_e32 v2, 0x3ff00000
	s_mov_b64 s[4:5], 0
	v_mov_b32_e32 v6, s10
	v_mov_b32_e32 v7, v0
	s_branch .LBB48_6
.LBB48_5:                               ;   in Loop: Header=BB48_6 Depth=1
	s_or_b64 exec, exec, s[10:11]
	s_waitcnt vmcnt(0)
	v_mul_f64 v[1:2], v[1:2], v[4:5]
	v_add_u32_e32 v7, s20, v7
	v_cmp_le_i32_e32 vcc, s15, v7
	s_or_b64 s[4:5], vcc, s[4:5]
	v_add_u32_e32 v3, s22, v3
	s_andn2_b64 exec, exec, s[4:5]
	s_cbranch_execz .LBB48_8
.LBB48_6:                               ; =>This Inner Loop Header: Depth=1
	v_ashrrev_i32_e32 v4, 31, v3
	v_lshlrev_b64 v[4:5], 3, v[3:4]
	v_add_u32_e32 v8, s21, v7
	v_add_co_u32_e32 v4, vcc, s19, v4
	v_addc_co_u32_e32 v5, vcc, v6, v5, vcc
	global_load_dwordx2 v[4:5], v[4:5], off
	v_cmp_ne_u32_e32 vcc, 0, v8
	s_and_saveexec_b64 s[10:11], vcc
	s_cbranch_execz .LBB48_5
; %bb.7:                                ;   in Loop: Header=BB48_6 Depth=1
	v_add_u32_e32 v8, s3, v7
	v_ashrrev_i32_e32 v9, 31, v8
	v_lshlrev_b64 v[8:9], 3, v[8:9]
	v_mov_b32_e32 v10, s18
	v_add_co_u32_e32 v8, vcc, s17, v8
	v_addc_co_u32_e32 v9, vcc, v10, v9, vcc
	global_load_dwordx2 v[8:9], v[8:9], off
	s_load_dwordx2 s[24:25], s[0:1], 0x0
	s_waitcnt vmcnt(0) lgkmcnt(0)
	v_add_f64 v[8:9], s[24:25], -v[8:9]
	v_div_scale_f64 v[10:11], s[24:25], v[8:9], v[8:9], v[4:5]
	v_div_scale_f64 v[16:17], vcc, v[4:5], v[8:9], v[4:5]
	v_rcp_f64_e32 v[12:13], v[10:11]
	v_fma_f64 v[14:15], -v[10:11], v[12:13], 1.0
	v_fma_f64 v[12:13], v[12:13], v[14:15], v[12:13]
	v_fma_f64 v[14:15], -v[10:11], v[12:13], 1.0
	v_fma_f64 v[12:13], v[12:13], v[14:15], v[12:13]
	v_mul_f64 v[14:15], v[16:17], v[12:13]
	v_fma_f64 v[10:11], -v[10:11], v[14:15], v[16:17]
	v_div_fmas_f64 v[10:11], v[10:11], v[12:13], v[14:15]
	v_div_fixup_f64 v[4:5], v[10:11], v[8:9], v[4:5]
	s_branch .LBB48_5
.LBB48_8:
	s_or_b64 exec, exec, s[4:5]
	v_mov_b32_e32 v4, s16
.LBB48_9:
	s_or_b64 exec, exec, s[12:13]
	v_lshlrev_b32_e32 v3, 3, v0
	v_cmp_lt_u16_e32 vcc, 1, v4
	ds_write_b64 v3, v[1:2]
	s_waitcnt lgkmcnt(0)
	s_barrier
	s_and_saveexec_b64 s[0:1], vcc
	s_cbranch_execz .LBB48_15
; %bb.10:
	v_lshrrev_b16_e32 v4, 1, v4
	s_mov_b64 s[4:5], 0
	s_branch .LBB48_12
.LBB48_11:                              ;   in Loop: Header=BB48_12 Depth=1
	s_or_b64 exec, exec, s[10:11]
	v_lshrrev_b32_e32 v5, 1, v4
	v_cmp_gt_u32_e32 vcc, 2, v4
	s_or_b64 s[4:5], vcc, s[4:5]
	v_mov_b32_e32 v4, v5
	s_waitcnt lgkmcnt(0)
	s_barrier
	s_andn2_b64 exec, exec, s[4:5]
	s_cbranch_execz .LBB48_14
.LBB48_12:                              ; =>This Inner Loop Header: Depth=1
	v_cmp_lt_u32_e32 vcc, v0, v4
	s_and_saveexec_b64 s[10:11], vcc
	s_cbranch_execz .LBB48_11
; %bb.13:                               ;   in Loop: Header=BB48_12 Depth=1
	v_lshl_add_u32 v5, v4, 3, v3
	ds_read_b64 v[5:6], v5
	s_waitcnt lgkmcnt(0)
	v_mul_f64 v[1:2], v[1:2], v[5:6]
	ds_write_b64 v3, v[1:2]
	s_branch .LBB48_11
.LBB48_14:
	s_or_b64 exec, exec, s[4:5]
.LBB48_15:
	s_or_b64 exec, exec, s[0:1]
	v_cmp_eq_u32_e32 vcc, 0, v0
	s_and_saveexec_b64 s[0:1], vcc
	s_cbranch_execz .LBB48_17
; %bb.16:
	s_mov_b32 s0, 0
	s_brev_b32 s1, 8
	v_cmp_lt_f64_e64 vcc, |v[1:2]|, s[0:1]
	v_mov_b32_e32 v0, 0x100
	s_mul_i32 s0, s14, 10
	s_ashr_i32 s1, s0, 31
	s_lshl_b64 s[0:1], s[0:1], 3
	s_add_u32 s3, s8, s0
	s_addc_u32 s4, s9, s1
	s_lshl_b32 s0, s2, 3
	v_cndmask_b32_e32 v0, 0, v0, vcc
	v_ldexp_f64 v[0:1], |v[1:2]|, v0
	s_ashr_i32 s1, s0, 31
	v_mov_b32_e32 v8, 0xffffff80
	s_lshl_b64 s[0:1], s[0:1], 3
	v_mov_b32_e32 v9, 0x260
	s_add_u32 s2, s3, s0
	s_addc_u32 s3, s4, s1
	s_lshl_b64 s[0:1], s[6:7], 3
	v_rsq_f64_e32 v[2:3], v[0:1]
	s_add_u32 s0, s2, s0
	s_addc_u32 s1, s3, s1
	s_load_dwordx2 s[2:3], s[0:1], 0x0
	v_mul_f64 v[4:5], v[0:1], v[2:3]
	v_mul_f64 v[2:3], v[2:3], 0.5
	v_fma_f64 v[6:7], -v[2:3], v[4:5], 0.5
	v_fma_f64 v[4:5], v[4:5], v[6:7], v[4:5]
	v_fma_f64 v[2:3], v[2:3], v[6:7], v[2:3]
	v_fma_f64 v[6:7], -v[4:5], v[4:5], v[0:1]
	v_fma_f64 v[4:5], v[6:7], v[2:3], v[4:5]
	v_fma_f64 v[6:7], -v[4:5], v[4:5], v[0:1]
	v_fma_f64 v[2:3], v[6:7], v[2:3], v[4:5]
	v_cndmask_b32_e32 v4, 0, v8, vcc
	v_cmp_class_f64_e32 vcc, v[0:1], v9
	v_ldexp_f64 v[2:3], v[2:3], v4
	v_mov_b32_e32 v4, 0
	v_cndmask_b32_e32 v0, v2, v0, vcc
	v_cndmask_b32_e32 v1, v3, v1, vcc
	s_waitcnt lgkmcnt(0)
	v_cmp_lt_f64_e64 vcc, s[2:3], 0
	v_xor_b32_e32 v2, 0x80000000, v1
	v_cndmask_b32_e32 v1, v1, v2, vcc
	global_store_dwordx2 v4, v[0:1], s[0:1]
.LBB48_17:
	s_endpgm
	.section	.rodata,"a",@progbits
	.p2align	6, 0x0
	.amdhsa_kernel _ZN9rocsolver6v33100L32stedc_mergeValues_Rescale_kernelIdEEviiPT_lS3_lS3_S3_PiS2_S2_S2_
		.amdhsa_group_segment_fixed_size 4096
		.amdhsa_private_segment_fixed_size 0
		.amdhsa_kernarg_size 344
		.amdhsa_user_sgpr_count 6
		.amdhsa_user_sgpr_private_segment_buffer 1
		.amdhsa_user_sgpr_dispatch_ptr 0
		.amdhsa_user_sgpr_queue_ptr 0
		.amdhsa_user_sgpr_kernarg_segment_ptr 1
		.amdhsa_user_sgpr_dispatch_id 0
		.amdhsa_user_sgpr_flat_scratch_init 0
		.amdhsa_user_sgpr_private_segment_size 0
		.amdhsa_uses_dynamic_stack 0
		.amdhsa_system_sgpr_private_segment_wavefront_offset 0
		.amdhsa_system_sgpr_workgroup_id_x 1
		.amdhsa_system_sgpr_workgroup_id_y 1
		.amdhsa_system_sgpr_workgroup_id_z 0
		.amdhsa_system_sgpr_workgroup_info 0
		.amdhsa_system_vgpr_workitem_id 0
		.amdhsa_next_free_vgpr 18
		.amdhsa_next_free_sgpr 26
		.amdhsa_reserve_vcc 1
		.amdhsa_reserve_flat_scratch 0
		.amdhsa_float_round_mode_32 0
		.amdhsa_float_round_mode_16_64 0
		.amdhsa_float_denorm_mode_32 3
		.amdhsa_float_denorm_mode_16_64 3
		.amdhsa_dx10_clamp 1
		.amdhsa_ieee_mode 1
		.amdhsa_fp16_overflow 0
		.amdhsa_exception_fp_ieee_invalid_op 0
		.amdhsa_exception_fp_denorm_src 0
		.amdhsa_exception_fp_ieee_div_zero 0
		.amdhsa_exception_fp_ieee_overflow 0
		.amdhsa_exception_fp_ieee_underflow 0
		.amdhsa_exception_fp_ieee_inexact 0
		.amdhsa_exception_int_div_zero 0
	.end_amdhsa_kernel
	.section	.text._ZN9rocsolver6v33100L32stedc_mergeValues_Rescale_kernelIdEEviiPT_lS3_lS3_S3_PiS2_S2_S2_,"axG",@progbits,_ZN9rocsolver6v33100L32stedc_mergeValues_Rescale_kernelIdEEviiPT_lS3_lS3_S3_PiS2_S2_S2_,comdat
.Lfunc_end48:
	.size	_ZN9rocsolver6v33100L32stedc_mergeValues_Rescale_kernelIdEEviiPT_lS3_lS3_S3_PiS2_S2_S2_, .Lfunc_end48-_ZN9rocsolver6v33100L32stedc_mergeValues_Rescale_kernelIdEEviiPT_lS3_lS3_S3_PiS2_S2_S2_
                                        ; -- End function
	.set _ZN9rocsolver6v33100L32stedc_mergeValues_Rescale_kernelIdEEviiPT_lS3_lS3_S3_PiS2_S2_S2_.num_vgpr, 18
	.set _ZN9rocsolver6v33100L32stedc_mergeValues_Rescale_kernelIdEEviiPT_lS3_lS3_S3_PiS2_S2_S2_.num_agpr, 0
	.set _ZN9rocsolver6v33100L32stedc_mergeValues_Rescale_kernelIdEEviiPT_lS3_lS3_S3_PiS2_S2_S2_.numbered_sgpr, 26
	.set _ZN9rocsolver6v33100L32stedc_mergeValues_Rescale_kernelIdEEviiPT_lS3_lS3_S3_PiS2_S2_S2_.num_named_barrier, 0
	.set _ZN9rocsolver6v33100L32stedc_mergeValues_Rescale_kernelIdEEviiPT_lS3_lS3_S3_PiS2_S2_S2_.private_seg_size, 0
	.set _ZN9rocsolver6v33100L32stedc_mergeValues_Rescale_kernelIdEEviiPT_lS3_lS3_S3_PiS2_S2_S2_.uses_vcc, 1
	.set _ZN9rocsolver6v33100L32stedc_mergeValues_Rescale_kernelIdEEviiPT_lS3_lS3_S3_PiS2_S2_S2_.uses_flat_scratch, 0
	.set _ZN9rocsolver6v33100L32stedc_mergeValues_Rescale_kernelIdEEviiPT_lS3_lS3_S3_PiS2_S2_S2_.has_dyn_sized_stack, 0
	.set _ZN9rocsolver6v33100L32stedc_mergeValues_Rescale_kernelIdEEviiPT_lS3_lS3_S3_PiS2_S2_S2_.has_recursion, 0
	.set _ZN9rocsolver6v33100L32stedc_mergeValues_Rescale_kernelIdEEviiPT_lS3_lS3_S3_PiS2_S2_S2_.has_indirect_call, 0
	.section	.AMDGPU.csdata,"",@progbits
; Kernel info:
; codeLenInByte = 1024
; TotalNumSgprs: 30
; NumVgprs: 18
; ScratchSize: 0
; MemoryBound: 0
; FloatMode: 240
; IeeeMode: 1
; LDSByteSize: 4096 bytes/workgroup (compile time only)
; SGPRBlocks: 3
; VGPRBlocks: 4
; NumSGPRsForWavesPerEU: 30
; NumVGPRsForWavesPerEU: 18
; Occupancy: 10
; WaveLimiterHint : 1
; COMPUTE_PGM_RSRC2:SCRATCH_EN: 0
; COMPUTE_PGM_RSRC2:USER_SGPR: 6
; COMPUTE_PGM_RSRC2:TRAP_HANDLER: 0
; COMPUTE_PGM_RSRC2:TGID_X_EN: 1
; COMPUTE_PGM_RSRC2:TGID_Y_EN: 1
; COMPUTE_PGM_RSRC2:TGID_Z_EN: 0
; COMPUTE_PGM_RSRC2:TIDIG_COMP_CNT: 0
	.section	.text._ZN9rocsolver6v33100L25stedc_mergeVectors_kernelILb1EdEEviiPT0_iilS3_S3_Pi,"axG",@progbits,_ZN9rocsolver6v33100L25stedc_mergeVectors_kernelILb1EdEEviiPT0_iilS3_S3_Pi,comdat
	.globl	_ZN9rocsolver6v33100L25stedc_mergeVectors_kernelILb1EdEEviiPT0_iilS3_S3_Pi ; -- Begin function _ZN9rocsolver6v33100L25stedc_mergeVectors_kernelILb1EdEEviiPT0_iilS3_S3_Pi
	.p2align	8
	.type	_ZN9rocsolver6v33100L25stedc_mergeVectors_kernelILb1EdEEviiPT0_iilS3_S3_Pi,@function
_ZN9rocsolver6v33100L25stedc_mergeVectors_kernelILb1EdEEviiPT0_iilS3_S3_Pi: ; @_ZN9rocsolver6v33100L25stedc_mergeVectors_kernelILb1EdEEviiPT0_iilS3_S3_Pi
; %bb.0:
	s_load_dword s8, s[4:5], 0x4
	s_load_dword s12, s[4:5], 0x44
	s_load_dwordx2 s[10:11], s[4:5], 0x30
	s_load_dwordx4 s[0:3], s[4:5], 0x20
	s_waitcnt lgkmcnt(0)
	s_mul_i32 s16, s8, s7
	s_mul_i32 s4, s16, 13
	s_ashr_i32 s5, s4, 31
	s_ashr_i32 s9, s8, 31
	s_and_b32 s20, s12, 0xffff
	s_lshl_b64 s[4:5], s[4:5], 2
	s_add_u32 s7, s10, s4
	s_mul_i32 s4, s8, 5
	s_addc_u32 s10, s11, s5
	s_ashr_i32 s5, s4, 31
	s_lshl_b64 s[4:5], s[4:5], 2
	s_add_u32 s17, s7, s4
	s_addc_u32 s19, s10, s5
	s_lshl_b64 s[4:5], s[8:9], 2
	s_add_u32 s9, s17, s4
	s_addc_u32 s15, s19, s5
	s_add_u32 s21, s9, s4
	s_mul_i32 s4, s16, s8
	s_addc_u32 s22, s15, s5
	s_lshl_b32 s4, s4, 1
	s_ashr_i32 s7, s6, 31
	s_ashr_i32 s5, s4, 31
	s_lshl_b64 s[12:13], s[6:7], 2
	s_add_u32 s14, s9, s12
	s_addc_u32 s15, s15, s13
	s_add_u32 s18, s17, s12
	s_addc_u32 s19, s19, s13
	;; [unrolled: 2-line block ×3, first 2 shown]
	s_load_dword s9, s[14:15], 0x0
	s_load_dword s7, s[18:19], 0x0
	;; [unrolled: 1-line block ×3, first 2 shown]
	s_mul_i32 s10, s8, s8
	s_mov_b32 s11, 0
	s_waitcnt lgkmcnt(0)
	s_sub_i32 s12, s6, s9
	s_cmp_ge_i32 s12, s21
	s_cselect_b64 s[12:13], -1, 0
	s_and_b64 vcc, exec, s[12:13]
	s_barrier
	s_cbranch_vccnz .LBB49_10
; %bb.1:
	v_mov_b32_e32 v1, 0
	v_mov_b32_e32 v2, 0
	v_cmp_gt_i32_e32 vcc, s21, v0
	s_and_saveexec_b64 s[14:15], vcc
	s_cbranch_execz .LBB49_5
; %bb.2:
	s_mul_i32 s24, s8, s6
	v_add_u32_e32 v1, s24, v0
	v_ashrrev_i32_e32 v2, 31, v1
	v_lshlrev_b64 v[1:2], 3, v[1:2]
	s_mul_i32 s16, s16, 10
	s_lshl_b32 s18, s8, 3
	s_lshl_b64 s[22:23], s[4:5], 3
	s_ashr_i32 s17, s16, 31
	s_ashr_i32 s19, s18, 31
	v_mov_b32_e32 v3, s23
	v_add_co_u32_e32 v1, vcc, s22, v1
	s_lshl_b64 s[22:23], s[10:11], 3
	s_add_u32 s22, s2, s22
	v_addc_co_u32_e32 v2, vcc, v3, v2, vcc
	s_addc_u32 s23, s3, s23
	v_mov_b32_e32 v4, s23
	v_add_co_u32_e32 v3, vcc, s22, v1
	v_addc_co_u32_e32 v4, vcc, v4, v2, vcc
	s_lshl_b32 s22, s20, 3
	s_lshl_b64 s[16:17], s[16:17], 3
	s_lshl_b64 s[18:19], s[18:19], 3
	v_mov_b32_e32 v6, s3
	v_add_co_u32_e32 v5, vcc, s2, v1
	s_add_u32 s16, s16, s18
	v_add_u32_e32 v1, s9, v0
	v_addc_co_u32_e32 v6, vcc, v6, v2, vcc
	s_addc_u32 s17, s17, s19
	v_ashrrev_i32_e32 v2, 31, v1
	v_lshlrev_b64 v[1:2], 3, v[1:2]
	s_add_u32 s0, s0, s16
	s_addc_u32 s1, s1, s17
	v_mov_b32_e32 v8, s1
	v_add_co_u32_e32 v7, vcc, s0, v1
	v_addc_co_u32_e32 v8, vcc, v8, v2, vcc
	v_mov_b32_e32 v1, 0
	v_mov_b32_e32 v2, 0
	s_mov_b64 s[16:17], 0
	s_mov_b64 s[18:19], 0
	v_mov_b32_e32 v9, v0
.LBB49_3:                               ; =>This Inner Loop Header: Depth=1
	v_mov_b32_e32 v22, s19
	v_add_co_u32_e64 v12, s[0:1], s18, v7
	v_add_co_u32_e32 v10, vcc, s18, v3
	v_addc_co_u32_e64 v13, s[0:1], v8, v22, s[0:1]
	v_addc_co_u32_e32 v11, vcc, v4, v22, vcc
	global_load_dwordx2 v[14:15], v[12:13], off
	global_load_dwordx2 v[16:17], v[10:11], off
	v_add_u32_e32 v9, s20, v9
	s_waitcnt vmcnt(0)
	v_div_scale_f64 v[10:11], s[0:1], v[16:17], v[16:17], v[14:15]
	v_rcp_f64_e32 v[12:13], v[10:11]
	v_fma_f64 v[18:19], -v[10:11], v[12:13], 1.0
	v_fma_f64 v[12:13], v[12:13], v[18:19], v[12:13]
	v_div_scale_f64 v[18:19], vcc, v[14:15], v[16:17], v[14:15]
	v_fma_f64 v[20:21], -v[10:11], v[12:13], 1.0
	v_fma_f64 v[12:13], v[12:13], v[20:21], v[12:13]
	v_mul_f64 v[20:21], v[18:19], v[12:13]
	v_fma_f64 v[10:11], -v[10:11], v[20:21], v[18:19]
	v_div_fmas_f64 v[10:11], v[10:11], v[12:13], v[20:21]
	v_add_co_u32_e32 v12, vcc, s18, v5
	s_add_u32 s18, s18, s22
	v_addc_co_u32_e32 v13, vcc, v6, v22, vcc
	s_addc_u32 s19, s19, 0
	v_cmp_le_i32_e32 vcc, s21, v9
	s_or_b64 s[16:17], vcc, s[16:17]
	v_div_fixup_f64 v[10:11], v[10:11], v[16:17], v[14:15]
	v_fma_f64 v[1:2], v[10:11], v[10:11], v[1:2]
	global_store_dwordx2 v[12:13], v[10:11], off
	s_andn2_b64 exec, exec, s[16:17]
	s_cbranch_execnz .LBB49_3
; %bb.4:
	s_or_b64 exec, exec, s[16:17]
.LBB49_5:
	s_or_b64 exec, exec, s[14:15]
	v_lshlrev_b32_e32 v3, 3, v0
	s_cmp_lt_u32 s20, 2
	ds_write_b64 v3, v[1:2]
	s_cbranch_scc1 .LBB49_11
; %bb.6:
	s_mov_b32 s14, s20
	s_branch .LBB49_8
.LBB49_7:                               ;   in Loop: Header=BB49_8 Depth=1
	s_or_b64 exec, exec, s[0:1]
	s_cmp_lt_u32 s14, 4
	s_mov_b32 s14, s15
	s_cbranch_scc1 .LBB49_11
.LBB49_8:                               ; =>This Inner Loop Header: Depth=1
	s_lshr_b32 s15, s14, 1
	v_cmp_gt_u32_e32 vcc, s15, v0
	s_waitcnt vmcnt(0) lgkmcnt(0)
	s_barrier
	s_and_saveexec_b64 s[0:1], vcc
	s_cbranch_execz .LBB49_7
; %bb.9:                                ;   in Loop: Header=BB49_8 Depth=1
	v_lshl_add_u32 v4, s15, 3, v3
	ds_read_b64 v[4:5], v4
	s_waitcnt lgkmcnt(0)
	v_add_f64 v[1:2], v[1:2], v[4:5]
	ds_write_b64 v3, v[1:2]
	s_branch .LBB49_7
.LBB49_10:
                                        ; implicit-def: $vgpr1_vgpr2
	s_add_i32 s14, s7, s9
	v_cmp_gt_i32_e32 vcc, s14, v0
	s_and_saveexec_b64 s[0:1], vcc
	s_cbranch_execnz .LBB49_12
	s_branch .LBB49_18
.LBB49_11:
	v_mov_b32_e32 v1, 0
	s_waitcnt vmcnt(0) lgkmcnt(0)
	s_barrier
	ds_read_b64 v[1:2], v1
	s_mov_b32 s0, 0
	s_brev_b32 s1, 8
	s_waitcnt lgkmcnt(0)
	v_cmp_gt_f64_e32 vcc, s[0:1], v[1:2]
	s_and_b64 s[0:1], vcc, exec
	s_cselect_b32 s0, 0x100, 0
	v_ldexp_f64 v[1:2], v[1:2], s0
	s_cselect_b32 s0, 0xffffff80, 0
	v_rsq_f64_e32 v[3:4], v[1:2]
	v_mul_f64 v[5:6], v[1:2], v[3:4]
	v_mul_f64 v[3:4], v[3:4], 0.5
	v_fma_f64 v[7:8], -v[3:4], v[5:6], 0.5
	v_fma_f64 v[5:6], v[5:6], v[7:8], v[5:6]
	v_fma_f64 v[3:4], v[3:4], v[7:8], v[3:4]
	v_fma_f64 v[7:8], -v[5:6], v[5:6], v[1:2]
	v_fma_f64 v[5:6], v[7:8], v[3:4], v[5:6]
	v_fma_f64 v[7:8], -v[5:6], v[5:6], v[1:2]
	v_fma_f64 v[3:4], v[7:8], v[3:4], v[5:6]
	v_mov_b32_e32 v5, 0x260
	v_cmp_class_f64_e32 vcc, v[1:2], v5
	v_ldexp_f64 v[3:4], v[3:4], s0
	v_cndmask_b32_e32 v2, v4, v2, vcc
	v_cndmask_b32_e32 v1, v3, v1, vcc
	s_add_i32 s14, s7, s9
	v_cmp_gt_i32_e32 vcc, s14, v0
	s_and_saveexec_b64 s[0:1], vcc
	s_cbranch_execz .LBB49_18
.LBB49_12:
	s_lshl_b64 s[0:1], s[4:5], 3
	s_add_u32 s15, s2, s0
	s_addc_u32 s16, s3, s1
	s_lshl_b64 s[0:1], s[10:11], 3
	s_add_u32 s10, s15, s0
	s_addc_u32 s4, s16, s1
	s_mul_i32 s8, s8, s6
	s_sub_i32 s11, 0, s9
	s_sub_i32 s17, s8, s9
	s_mov_b64 s[0:1], 0
	s_xor_b64 s[2:3], s[12:13], -1
	v_mov_b32_e32 v5, s4
	s_branch .LBB49_15
.LBB49_13:                              ;   in Loop: Header=BB49_15 Depth=1
	s_or_b64 exec, exec, s[6:7]
.LBB49_14:                              ;   in Loop: Header=BB49_15 Depth=1
	s_or_b64 exec, exec, s[4:5]
	v_add_u32_e32 v6, s8, v0
	v_ashrrev_i32_e32 v7, 31, v6
	v_lshlrev_b64 v[6:7], 3, v[6:7]
	v_add_u32_e32 v0, s20, v0
	v_add_co_u32_e32 v6, vcc, s10, v6
	v_addc_co_u32_e32 v7, vcc, v5, v7, vcc
	v_cmp_le_i32_e32 vcc, s14, v0
	s_or_b64 s[0:1], vcc, s[0:1]
	global_store_dwordx2 v[6:7], v[3:4], off
	s_andn2_b64 exec, exec, s[0:1]
	s_cbranch_execz .LBB49_18
.LBB49_15:                              ; =>This Inner Loop Header: Depth=1
	v_cmp_le_i32_e32 vcc, s9, v0
	v_mov_b32_e32 v3, 0
	v_mov_b32_e32 v4, 0
	s_and_b64 s[6:7], s[2:3], vcc
	s_and_saveexec_b64 s[4:5], s[6:7]
	s_cbranch_execz .LBB49_14
; %bb.16:                               ;   in Loop: Header=BB49_15 Depth=1
	v_add_u32_e32 v6, s11, v0
	v_mov_b32_e32 v3, 0
	v_mov_b32_e32 v4, 0
	v_cmp_gt_i32_e32 vcc, s21, v6
	s_and_saveexec_b64 s[6:7], vcc
	s_cbranch_execz .LBB49_13
; %bb.17:                               ;   in Loop: Header=BB49_15 Depth=1
	v_add_u32_e32 v3, s17, v0
	v_ashrrev_i32_e32 v4, 31, v3
	v_lshlrev_b64 v[3:4], 3, v[3:4]
	v_mov_b32_e32 v6, s16
	v_add_co_u32_e32 v3, vcc, s15, v3
	v_addc_co_u32_e32 v4, vcc, v6, v4, vcc
	global_load_dwordx2 v[3:4], v[3:4], off
	s_waitcnt vmcnt(0)
	v_div_scale_f64 v[6:7], s[12:13], v[1:2], v[1:2], v[3:4]
	v_div_scale_f64 v[12:13], vcc, v[3:4], v[1:2], v[3:4]
	v_rcp_f64_e32 v[8:9], v[6:7]
	v_fma_f64 v[10:11], -v[6:7], v[8:9], 1.0
	v_fma_f64 v[8:9], v[8:9], v[10:11], v[8:9]
	v_fma_f64 v[10:11], -v[6:7], v[8:9], 1.0
	v_fma_f64 v[8:9], v[8:9], v[10:11], v[8:9]
	v_mul_f64 v[10:11], v[12:13], v[8:9]
	v_fma_f64 v[6:7], -v[6:7], v[10:11], v[12:13]
	v_div_fmas_f64 v[6:7], v[6:7], v[8:9], v[10:11]
	v_div_fixup_f64 v[3:4], v[6:7], v[1:2], v[3:4]
	s_branch .LBB49_13
.LBB49_18:
	s_endpgm
	.section	.rodata,"a",@progbits
	.p2align	6, 0x0
	.amdhsa_kernel _ZN9rocsolver6v33100L25stedc_mergeVectors_kernelILb1EdEEviiPT0_iilS3_S3_Pi
		.amdhsa_group_segment_fixed_size 4096
		.amdhsa_private_segment_fixed_size 0
		.amdhsa_kernarg_size 312
		.amdhsa_user_sgpr_count 6
		.amdhsa_user_sgpr_private_segment_buffer 1
		.amdhsa_user_sgpr_dispatch_ptr 0
		.amdhsa_user_sgpr_queue_ptr 0
		.amdhsa_user_sgpr_kernarg_segment_ptr 1
		.amdhsa_user_sgpr_dispatch_id 0
		.amdhsa_user_sgpr_flat_scratch_init 0
		.amdhsa_user_sgpr_private_segment_size 0
		.amdhsa_uses_dynamic_stack 0
		.amdhsa_system_sgpr_private_segment_wavefront_offset 0
		.amdhsa_system_sgpr_workgroup_id_x 1
		.amdhsa_system_sgpr_workgroup_id_y 1
		.amdhsa_system_sgpr_workgroup_id_z 0
		.amdhsa_system_sgpr_workgroup_info 0
		.amdhsa_system_vgpr_workitem_id 0
		.amdhsa_next_free_vgpr 23
		.amdhsa_next_free_sgpr 25
		.amdhsa_reserve_vcc 1
		.amdhsa_reserve_flat_scratch 0
		.amdhsa_float_round_mode_32 0
		.amdhsa_float_round_mode_16_64 0
		.amdhsa_float_denorm_mode_32 3
		.amdhsa_float_denorm_mode_16_64 3
		.amdhsa_dx10_clamp 1
		.amdhsa_ieee_mode 1
		.amdhsa_fp16_overflow 0
		.amdhsa_exception_fp_ieee_invalid_op 0
		.amdhsa_exception_fp_denorm_src 0
		.amdhsa_exception_fp_ieee_div_zero 0
		.amdhsa_exception_fp_ieee_overflow 0
		.amdhsa_exception_fp_ieee_underflow 0
		.amdhsa_exception_fp_ieee_inexact 0
		.amdhsa_exception_int_div_zero 0
	.end_amdhsa_kernel
	.section	.text._ZN9rocsolver6v33100L25stedc_mergeVectors_kernelILb1EdEEviiPT0_iilS3_S3_Pi,"axG",@progbits,_ZN9rocsolver6v33100L25stedc_mergeVectors_kernelILb1EdEEviiPT0_iilS3_S3_Pi,comdat
.Lfunc_end49:
	.size	_ZN9rocsolver6v33100L25stedc_mergeVectors_kernelILb1EdEEviiPT0_iilS3_S3_Pi, .Lfunc_end49-_ZN9rocsolver6v33100L25stedc_mergeVectors_kernelILb1EdEEviiPT0_iilS3_S3_Pi
                                        ; -- End function
	.set _ZN9rocsolver6v33100L25stedc_mergeVectors_kernelILb1EdEEviiPT0_iilS3_S3_Pi.num_vgpr, 23
	.set _ZN9rocsolver6v33100L25stedc_mergeVectors_kernelILb1EdEEviiPT0_iilS3_S3_Pi.num_agpr, 0
	.set _ZN9rocsolver6v33100L25stedc_mergeVectors_kernelILb1EdEEviiPT0_iilS3_S3_Pi.numbered_sgpr, 25
	.set _ZN9rocsolver6v33100L25stedc_mergeVectors_kernelILb1EdEEviiPT0_iilS3_S3_Pi.num_named_barrier, 0
	.set _ZN9rocsolver6v33100L25stedc_mergeVectors_kernelILb1EdEEviiPT0_iilS3_S3_Pi.private_seg_size, 0
	.set _ZN9rocsolver6v33100L25stedc_mergeVectors_kernelILb1EdEEviiPT0_iilS3_S3_Pi.uses_vcc, 1
	.set _ZN9rocsolver6v33100L25stedc_mergeVectors_kernelILb1EdEEviiPT0_iilS3_S3_Pi.uses_flat_scratch, 0
	.set _ZN9rocsolver6v33100L25stedc_mergeVectors_kernelILb1EdEEviiPT0_iilS3_S3_Pi.has_dyn_sized_stack, 0
	.set _ZN9rocsolver6v33100L25stedc_mergeVectors_kernelILb1EdEEviiPT0_iilS3_S3_Pi.has_recursion, 0
	.set _ZN9rocsolver6v33100L25stedc_mergeVectors_kernelILb1EdEEviiPT0_iilS3_S3_Pi.has_indirect_call, 0
	.section	.AMDGPU.csdata,"",@progbits
; Kernel info:
; codeLenInByte = 1196
; TotalNumSgprs: 29
; NumVgprs: 23
; ScratchSize: 0
; MemoryBound: 0
; FloatMode: 240
; IeeeMode: 1
; LDSByteSize: 4096 bytes/workgroup (compile time only)
; SGPRBlocks: 3
; VGPRBlocks: 5
; NumSGPRsForWavesPerEU: 29
; NumVGPRsForWavesPerEU: 23
; Occupancy: 10
; WaveLimiterHint : 1
; COMPUTE_PGM_RSRC2:SCRATCH_EN: 0
; COMPUTE_PGM_RSRC2:USER_SGPR: 6
; COMPUTE_PGM_RSRC2:TRAP_HANDLER: 0
; COMPUTE_PGM_RSRC2:TGID_X_EN: 1
; COMPUTE_PGM_RSRC2:TGID_Y_EN: 1
; COMPUTE_PGM_RSRC2:TGID_Z_EN: 0
; COMPUTE_PGM_RSRC2:TIDIG_COMP_CNT: 0
	.section	.text._ZN9rocsolver6v33100L24stedc_mergeUpdate_kernelIdEEviiPT_lS3_iilS3_S3_Pi,"axG",@progbits,_ZN9rocsolver6v33100L24stedc_mergeUpdate_kernelIdEEviiPT_lS3_iilS3_S3_Pi,comdat
	.globl	_ZN9rocsolver6v33100L24stedc_mergeUpdate_kernelIdEEviiPT_lS3_iilS3_S3_Pi ; -- Begin function _ZN9rocsolver6v33100L24stedc_mergeUpdate_kernelIdEEviiPT_lS3_iilS3_S3_Pi
	.p2align	8
	.type	_ZN9rocsolver6v33100L24stedc_mergeUpdate_kernelIdEEviiPT_lS3_iilS3_S3_Pi,@function
_ZN9rocsolver6v33100L24stedc_mergeUpdate_kernelIdEEviiPT_lS3_iilS3_S3_Pi: ; @_ZN9rocsolver6v33100L24stedc_mergeUpdate_kernelIdEEviiPT_lS3_iilS3_S3_Pi
; %bb.0:
	s_load_dword s2, s[4:5], 0x4
	s_load_dwordx8 s[8:15], s[4:5], 0x28
	s_mov_b32 s0, s7
	s_waitcnt lgkmcnt(0)
	s_mul_i32 s1, s2, s7
	s_mul_i32 s16, s1, 13
	s_ashr_i32 s17, s16, 31
	s_lshl_b64 s[16:17], s[16:17], 2
	s_add_u32 s3, s14, s16
	s_mul_i32 s14, s2, 7
	s_addc_u32 s7, s15, s17
	s_ashr_i32 s15, s14, 31
	s_lshl_b64 s[14:15], s[14:15], 2
	s_add_u32 s16, s3, s14
	s_addc_u32 s17, s7, s15
	s_ashr_i32 s3, s2, 31
	s_lshl_b64 s[20:21], s[2:3], 3
	s_sub_u32 s7, 0, s20
	s_subb_u32 s14, 0, s21
	s_add_u32 s25, s16, s7
	s_addc_u32 s26, s17, s14
	s_lshl_b64 s[14:15], s[2:3], 2
	s_add_u32 s3, s25, s14
	s_addc_u32 s15, s26, s15
	s_ashr_i32 s7, s6, 31
	s_lshl_b64 s[22:23], s[6:7], 2
	s_add_u32 s14, s3, s22
	s_addc_u32 s15, s15, s23
	s_add_u32 s16, s16, s22
	s_addc_u32 s17, s17, s23
	s_load_dword s3, s[14:15], 0x0
	s_load_dword s18, s[16:17], 0x0
	s_waitcnt lgkmcnt(0)
	s_sub_i32 s14, s6, s3
	s_cmp_ge_i32 s14, s18
	s_cbranch_scc1 .LBB50_6
; %bb.1:
	s_ashr_i32 s24, s0, 31
	s_add_u32 s22, s25, s22
	s_addc_u32 s23, s26, s23
	s_load_dwordx4 s[16:19], s[4:5], 0x8
	s_load_dwordx2 s[14:15], s[4:5], 0x18
	s_load_dword s25, s[22:23], 0x0
	v_cmp_eq_u32_e32 vcc, 0, v0
	s_and_saveexec_b64 s[22:23], vcc
	s_cbranch_execz .LBB50_3
; %bb.2:
	s_waitcnt lgkmcnt(0)
	s_mul_i32 s26, s18, s24
	s_mul_hi_u32 s27, s18, s0
	s_add_i32 s26, s27, s26
	s_mul_i32 s19, s19, s0
	s_add_i32 s19, s26, s19
	s_mul_i32 s18, s18, s0
	s_lshl_b64 s[18:19], s[18:19], 3
	s_add_u32 s18, s16, s18
	s_addc_u32 s19, s17, s19
	s_lshl_b64 s[16:17], s[6:7], 3
	s_add_u32 s18, s18, s16
	s_mul_i32 s26, s1, 10
	s_addc_u32 s19, s19, s17
	s_ashr_i32 s27, s26, 31
	s_lshl_b64 s[26:27], s[26:27], 3
	s_add_u32 s7, s10, s26
	s_addc_u32 s10, s11, s27
	s_add_u32 s7, s7, s20
	s_addc_u32 s11, s10, s21
	;; [unrolled: 2-line block ×3, first 2 shown]
	s_load_dwordx2 s[10:11], s[10:11], 0x0
	v_mov_b32_e32 v3, 0
	s_waitcnt lgkmcnt(0)
	v_mov_b32_e32 v1, s10
	v_mov_b32_e32 v2, s11
	global_store_dwordx2 v3, v[1:2], s[18:19]
.LBB50_3:
	s_or_b64 exec, exec, s[22:23]
	v_add_u32_e32 v0, s3, v0
	s_waitcnt lgkmcnt(0)
	s_add_i32 s3, s25, s3
	v_cmp_gt_i32_e32 vcc, s3, v0
	s_and_saveexec_b64 s[10:11], vcc
	s_cbranch_execz .LBB50_6
; %bb.4:
	s_load_dwordx2 s[10:11], s[4:5], 0x20
	s_load_dword s17, s[4:5], 0x54
	s_mul_i32 s7, s8, s24
	s_mul_hi_u32 s16, s8, s0
	s_add_i32 s7, s16, s7
	s_mul_i32 s9, s9, s0
	s_add_i32 s9, s7, s9
	s_mul_i32 s8, s8, s0
	s_waitcnt lgkmcnt(0)
	s_ashr_i32 s5, s10, 31
	s_lshl_b64 s[8:9], s[8:9], 3
	s_mov_b32 s4, s10
	s_add_u32 s0, s14, s8
	s_addc_u32 s7, s15, s9
	s_lshl_b64 s[4:5], s[4:5], 3
	s_add_u32 s4, s0, s4
	s_mul_i32 s1, s1, s2
	s_addc_u32 s8, s7, s5
	s_lshl_b32 s0, s1, 1
	s_ashr_i32 s1, s0, 31
	s_lshl_b64 s[0:1], s[0:1], 3
	s_add_u32 s5, s12, s0
	s_addc_u32 s9, s13, s1
	s_mul_i32 s2, s2, s6
	s_mul_i32 s6, s11, s6
	s_and_b32 s7, s17, 0xffff
	s_mov_b64 s[0:1], 0
	v_mov_b32_e32 v1, s9
	v_mov_b32_e32 v2, s8
.LBB50_5:                               ; =>This Inner Loop Header: Depth=1
	v_add_u32_e32 v3, s2, v0
	v_ashrrev_i32_e32 v4, 31, v3
	v_lshlrev_b64 v[3:4], 3, v[3:4]
	v_add_u32_e32 v5, s6, v0
	v_add_co_u32_e32 v3, vcc, s5, v3
	v_addc_co_u32_e32 v4, vcc, v1, v4, vcc
	global_load_dwordx2 v[3:4], v[3:4], off
	v_ashrrev_i32_e32 v6, 31, v5
	v_add_u32_e32 v0, s7, v0
	v_lshlrev_b64 v[5:6], 3, v[5:6]
	v_cmp_le_i32_e32 vcc, s3, v0
	s_or_b64 s[0:1], vcc, s[0:1]
	v_add_co_u32_e32 v5, vcc, s4, v5
	v_addc_co_u32_e32 v6, vcc, v2, v6, vcc
	s_waitcnt vmcnt(0)
	global_store_dwordx2 v[5:6], v[3:4], off
	s_andn2_b64 exec, exec, s[0:1]
	s_cbranch_execnz .LBB50_5
.LBB50_6:
	s_endpgm
	.section	.rodata,"a",@progbits
	.p2align	6, 0x0
	.amdhsa_kernel _ZN9rocsolver6v33100L24stedc_mergeUpdate_kernelIdEEviiPT_lS3_iilS3_S3_Pi
		.amdhsa_group_segment_fixed_size 0
		.amdhsa_private_segment_fixed_size 0
		.amdhsa_kernarg_size 328
		.amdhsa_user_sgpr_count 6
		.amdhsa_user_sgpr_private_segment_buffer 1
		.amdhsa_user_sgpr_dispatch_ptr 0
		.amdhsa_user_sgpr_queue_ptr 0
		.amdhsa_user_sgpr_kernarg_segment_ptr 1
		.amdhsa_user_sgpr_dispatch_id 0
		.amdhsa_user_sgpr_flat_scratch_init 0
		.amdhsa_user_sgpr_private_segment_size 0
		.amdhsa_uses_dynamic_stack 0
		.amdhsa_system_sgpr_private_segment_wavefront_offset 0
		.amdhsa_system_sgpr_workgroup_id_x 1
		.amdhsa_system_sgpr_workgroup_id_y 1
		.amdhsa_system_sgpr_workgroup_id_z 0
		.amdhsa_system_sgpr_workgroup_info 0
		.amdhsa_system_vgpr_workitem_id 0
		.amdhsa_next_free_vgpr 7
		.amdhsa_next_free_sgpr 28
		.amdhsa_reserve_vcc 1
		.amdhsa_reserve_flat_scratch 0
		.amdhsa_float_round_mode_32 0
		.amdhsa_float_round_mode_16_64 0
		.amdhsa_float_denorm_mode_32 3
		.amdhsa_float_denorm_mode_16_64 3
		.amdhsa_dx10_clamp 1
		.amdhsa_ieee_mode 1
		.amdhsa_fp16_overflow 0
		.amdhsa_exception_fp_ieee_invalid_op 0
		.amdhsa_exception_fp_denorm_src 0
		.amdhsa_exception_fp_ieee_div_zero 0
		.amdhsa_exception_fp_ieee_overflow 0
		.amdhsa_exception_fp_ieee_underflow 0
		.amdhsa_exception_fp_ieee_inexact 0
		.amdhsa_exception_int_div_zero 0
	.end_amdhsa_kernel
	.section	.text._ZN9rocsolver6v33100L24stedc_mergeUpdate_kernelIdEEviiPT_lS3_iilS3_S3_Pi,"axG",@progbits,_ZN9rocsolver6v33100L24stedc_mergeUpdate_kernelIdEEviiPT_lS3_iilS3_S3_Pi,comdat
.Lfunc_end50:
	.size	_ZN9rocsolver6v33100L24stedc_mergeUpdate_kernelIdEEviiPT_lS3_iilS3_S3_Pi, .Lfunc_end50-_ZN9rocsolver6v33100L24stedc_mergeUpdate_kernelIdEEviiPT_lS3_iilS3_S3_Pi
                                        ; -- End function
	.set _ZN9rocsolver6v33100L24stedc_mergeUpdate_kernelIdEEviiPT_lS3_iilS3_S3_Pi.num_vgpr, 7
	.set _ZN9rocsolver6v33100L24stedc_mergeUpdate_kernelIdEEviiPT_lS3_iilS3_S3_Pi.num_agpr, 0
	.set _ZN9rocsolver6v33100L24stedc_mergeUpdate_kernelIdEEviiPT_lS3_iilS3_S3_Pi.numbered_sgpr, 28
	.set _ZN9rocsolver6v33100L24stedc_mergeUpdate_kernelIdEEviiPT_lS3_iilS3_S3_Pi.num_named_barrier, 0
	.set _ZN9rocsolver6v33100L24stedc_mergeUpdate_kernelIdEEviiPT_lS3_iilS3_S3_Pi.private_seg_size, 0
	.set _ZN9rocsolver6v33100L24stedc_mergeUpdate_kernelIdEEviiPT_lS3_iilS3_S3_Pi.uses_vcc, 1
	.set _ZN9rocsolver6v33100L24stedc_mergeUpdate_kernelIdEEviiPT_lS3_iilS3_S3_Pi.uses_flat_scratch, 0
	.set _ZN9rocsolver6v33100L24stedc_mergeUpdate_kernelIdEEviiPT_lS3_iilS3_S3_Pi.has_dyn_sized_stack, 0
	.set _ZN9rocsolver6v33100L24stedc_mergeUpdate_kernelIdEEviiPT_lS3_iilS3_S3_Pi.has_recursion, 0
	.set _ZN9rocsolver6v33100L24stedc_mergeUpdate_kernelIdEEviiPT_lS3_iilS3_S3_Pi.has_indirect_call, 0
	.section	.AMDGPU.csdata,"",@progbits
; Kernel info:
; codeLenInByte = 576
; TotalNumSgprs: 32
; NumVgprs: 7
; ScratchSize: 0
; MemoryBound: 0
; FloatMode: 240
; IeeeMode: 1
; LDSByteSize: 0 bytes/workgroup (compile time only)
; SGPRBlocks: 3
; VGPRBlocks: 1
; NumSGPRsForWavesPerEU: 32
; NumVGPRsForWavesPerEU: 7
; Occupancy: 10
; WaveLimiterHint : 0
; COMPUTE_PGM_RSRC2:SCRATCH_EN: 0
; COMPUTE_PGM_RSRC2:USER_SGPR: 6
; COMPUTE_PGM_RSRC2:TRAP_HANDLER: 0
; COMPUTE_PGM_RSRC2:TGID_X_EN: 1
; COMPUTE_PGM_RSRC2:TGID_Y_EN: 1
; COMPUTE_PGM_RSRC2:TGID_Z_EN: 0
; COMPUTE_PGM_RSRC2:TIDIG_COMP_CNT: 0
	.section	.text._ZN9rocsolver6v33100L8copy_matIdPdNS0_7no_maskEEEvNS0_17copymat_directionEiiT0_iilPT_T1_13rocblas_fill_17rocblas_diagonal_,"axG",@progbits,_ZN9rocsolver6v33100L8copy_matIdPdNS0_7no_maskEEEvNS0_17copymat_directionEiiT0_iilPT_T1_13rocblas_fill_17rocblas_diagonal_,comdat
	.globl	_ZN9rocsolver6v33100L8copy_matIdPdNS0_7no_maskEEEvNS0_17copymat_directionEiiT0_iilPT_T1_13rocblas_fill_17rocblas_diagonal_ ; -- Begin function _ZN9rocsolver6v33100L8copy_matIdPdNS0_7no_maskEEEvNS0_17copymat_directionEiiT0_iilPT_T1_13rocblas_fill_17rocblas_diagonal_
	.p2align	8
	.type	_ZN9rocsolver6v33100L8copy_matIdPdNS0_7no_maskEEEvNS0_17copymat_directionEiiT0_iilPT_T1_13rocblas_fill_17rocblas_diagonal_,@function
_ZN9rocsolver6v33100L8copy_matIdPdNS0_7no_maskEEEvNS0_17copymat_directionEiiT0_iilPT_T1_13rocblas_fill_17rocblas_diagonal_: ; @_ZN9rocsolver6v33100L8copy_matIdPdNS0_7no_maskEEEvNS0_17copymat_directionEiiT0_iilPT_T1_13rocblas_fill_17rocblas_diagonal_
; %bb.0:
	s_load_dword s0, s[4:5], 0x4c
	s_load_dwordx4 s[20:23], s[4:5], 0x0
	s_waitcnt lgkmcnt(0)
	s_lshr_b32 s1, s0, 16
	s_and_b32 s0, s0, 0xffff
	s_mul_i32 s7, s7, s1
	s_mul_i32 s6, s6, s0
	v_add_u32_e32 v1, s7, v1
	v_add_u32_e32 v0, s6, v0
	v_cmp_gt_u32_e32 vcc, s21, v0
	v_cmp_gt_u32_e64 s[0:1], s22, v1
	s_and_b64 s[0:1], s[0:1], vcc
	s_and_saveexec_b64 s[2:3], s[0:1]
	s_cbranch_execz .LBB51_14
; %bb.1:
	s_load_dwordx2 s[2:3], s[4:5], 0x34
	s_waitcnt lgkmcnt(0)
	s_cmpk_lt_i32 s2, 0x7a
	s_cbranch_scc1 .LBB51_4
; %bb.2:
	s_cmpk_gt_i32 s2, 0x7a
	s_cbranch_scc0 .LBB51_5
; %bb.3:
	s_cmpk_lg_i32 s2, 0x7b
	s_mov_b64 s[6:7], -1
	s_cselect_b64 s[10:11], -1, 0
	s_cbranch_execz .LBB51_6
	s_branch .LBB51_7
.LBB51_4:
	s_mov_b64 s[10:11], 0
	s_mov_b64 s[6:7], 0
	s_cbranch_execnz .LBB51_8
	s_branch .LBB51_10
.LBB51_5:
	s_mov_b64 s[6:7], 0
	s_mov_b64 s[10:11], 0
.LBB51_6:
	v_cmp_gt_u32_e32 vcc, v0, v1
	v_cmp_le_u32_e64 s[0:1], v0, v1
	s_andn2_b64 s[6:7], s[6:7], exec
	s_and_b64 s[12:13], vcc, exec
	s_andn2_b64 s[10:11], s[10:11], exec
	s_and_b64 s[0:1], s[0:1], exec
	s_or_b64 s[6:7], s[6:7], s[12:13]
	s_or_b64 s[10:11], s[10:11], s[0:1]
.LBB51_7:
	s_branch .LBB51_10
.LBB51_8:
	s_cmpk_eq_i32 s2, 0x79
	s_mov_b64 s[10:11], -1
	s_cbranch_scc0 .LBB51_10
; %bb.9:
	v_cmp_gt_u32_e32 vcc, v1, v0
	v_cmp_le_u32_e64 s[0:1], v1, v0
	s_andn2_b64 s[6:7], s[6:7], exec
	s_and_b64 s[10:11], vcc, exec
	s_or_b64 s[6:7], s[6:7], s[10:11]
	s_orn2_b64 s[10:11], s[0:1], exec
.LBB51_10:
	s_and_saveexec_b64 s[0:1], s[10:11]
; %bb.11:
	s_cmpk_eq_i32 s3, 0x83
	s_cselect_b64 s[2:3], -1, 0
	v_cmp_eq_u32_e32 vcc, v0, v1
	s_and_b64 s[2:3], s[2:3], vcc
	s_andn2_b64 s[6:7], s[6:7], exec
	s_and_b64 s[2:3], s[2:3], exec
	s_or_b64 s[6:7], s[6:7], s[2:3]
; %bb.12:
	s_or_b64 exec, exec, s[0:1]
	s_and_b64 exec, exec, s[6:7]
	s_cbranch_execz .LBB51_14
; %bb.13:
	s_load_dwordx8 s[12:19], s[4:5], 0x10
	s_ashr_i32 s4, s21, 31
	s_ashr_i32 s5, s22, 31
	s_mul_i32 s4, s4, s8
	s_waitcnt lgkmcnt(0)
	s_mul_i32 s2, s17, s8
	s_mul_hi_u32 s3, s16, s8
	s_add_i32 s3, s3, s2
	s_mul_i32 s2, s16, s8
	s_ashr_i32 s1, s14, 31
	s_lshl_b64 s[2:3], s[2:3], 3
	s_mov_b32 s0, s14
	s_add_u32 s2, s12, s2
	s_addc_u32 s3, s13, s3
	s_lshl_b64 s[0:1], s[0:1], 3
	s_add_u32 s2, s2, s0
	s_mul_hi_u32 s0, s21, s8
	s_addc_u32 s3, s3, s1
	s_add_i32 s0, s0, s4
	s_mul_i32 s4, s21, s8
	s_mul_i32 s1, s4, s5
	s_mul_hi_u32 s5, s4, s22
	s_add_i32 s1, s5, s1
	s_mul_i32 s0, s0, s22
	s_add_i32 s1, s1, s0
	s_mul_i32 s0, s4, s22
	s_lshl_b64 s[0:1], s[0:1], 3
	s_add_u32 s4, s18, s0
	s_addc_u32 s5, s19, s1
	s_cmp_eq_u32 s20, 0
	s_cselect_b32 s0, s15, s21
	v_mad_u64_u32 v[2:3], s[0:1], v1, s0, v[0:1]
	v_mov_b32_e32 v3, 0
	s_cselect_b32 s0, s3, s5
	v_lshlrev_b64 v[4:5], 3, v[2:3]
	s_cselect_b32 s1, s2, s4
	v_mov_b32_e32 v2, s0
	v_add_co_u32_e32 v4, vcc, s1, v4
	v_addc_co_u32_e32 v5, vcc, v2, v5, vcc
	global_load_dwordx2 v[4:5], v[4:5], off
	s_cselect_b32 s0, s21, s15
	v_mad_u64_u32 v[0:1], s[0:1], v1, s0, v[0:1]
	v_mov_b32_e32 v1, v3
	s_cselect_b32 s0, s5, s3
	v_lshlrev_b64 v[0:1], 3, v[0:1]
	s_cselect_b32 s1, s4, s2
	v_mov_b32_e32 v2, s0
	v_add_co_u32_e32 v0, vcc, s1, v0
	v_addc_co_u32_e32 v1, vcc, v2, v1, vcc
	s_waitcnt vmcnt(0)
	global_store_dwordx2 v[0:1], v[4:5], off
.LBB51_14:
	s_endpgm
	.section	.rodata,"a",@progbits
	.p2align	6, 0x0
	.amdhsa_kernel _ZN9rocsolver6v33100L8copy_matIdPdNS0_7no_maskEEEvNS0_17copymat_directionEiiT0_iilPT_T1_13rocblas_fill_17rocblas_diagonal_
		.amdhsa_group_segment_fixed_size 0
		.amdhsa_private_segment_fixed_size 0
		.amdhsa_kernarg_size 320
		.amdhsa_user_sgpr_count 6
		.amdhsa_user_sgpr_private_segment_buffer 1
		.amdhsa_user_sgpr_dispatch_ptr 0
		.amdhsa_user_sgpr_queue_ptr 0
		.amdhsa_user_sgpr_kernarg_segment_ptr 1
		.amdhsa_user_sgpr_dispatch_id 0
		.amdhsa_user_sgpr_flat_scratch_init 0
		.amdhsa_user_sgpr_private_segment_size 0
		.amdhsa_uses_dynamic_stack 0
		.amdhsa_system_sgpr_private_segment_wavefront_offset 0
		.amdhsa_system_sgpr_workgroup_id_x 1
		.amdhsa_system_sgpr_workgroup_id_y 1
		.amdhsa_system_sgpr_workgroup_id_z 1
		.amdhsa_system_sgpr_workgroup_info 0
		.amdhsa_system_vgpr_workitem_id 1
		.amdhsa_next_free_vgpr 6
		.amdhsa_next_free_sgpr 24
		.amdhsa_reserve_vcc 1
		.amdhsa_reserve_flat_scratch 0
		.amdhsa_float_round_mode_32 0
		.amdhsa_float_round_mode_16_64 0
		.amdhsa_float_denorm_mode_32 3
		.amdhsa_float_denorm_mode_16_64 3
		.amdhsa_dx10_clamp 1
		.amdhsa_ieee_mode 1
		.amdhsa_fp16_overflow 0
		.amdhsa_exception_fp_ieee_invalid_op 0
		.amdhsa_exception_fp_denorm_src 0
		.amdhsa_exception_fp_ieee_div_zero 0
		.amdhsa_exception_fp_ieee_overflow 0
		.amdhsa_exception_fp_ieee_underflow 0
		.amdhsa_exception_fp_ieee_inexact 0
		.amdhsa_exception_int_div_zero 0
	.end_amdhsa_kernel
	.section	.text._ZN9rocsolver6v33100L8copy_matIdPdNS0_7no_maskEEEvNS0_17copymat_directionEiiT0_iilPT_T1_13rocblas_fill_17rocblas_diagonal_,"axG",@progbits,_ZN9rocsolver6v33100L8copy_matIdPdNS0_7no_maskEEEvNS0_17copymat_directionEiiT0_iilPT_T1_13rocblas_fill_17rocblas_diagonal_,comdat
.Lfunc_end51:
	.size	_ZN9rocsolver6v33100L8copy_matIdPdNS0_7no_maskEEEvNS0_17copymat_directionEiiT0_iilPT_T1_13rocblas_fill_17rocblas_diagonal_, .Lfunc_end51-_ZN9rocsolver6v33100L8copy_matIdPdNS0_7no_maskEEEvNS0_17copymat_directionEiiT0_iilPT_T1_13rocblas_fill_17rocblas_diagonal_
                                        ; -- End function
	.set _ZN9rocsolver6v33100L8copy_matIdPdNS0_7no_maskEEEvNS0_17copymat_directionEiiT0_iilPT_T1_13rocblas_fill_17rocblas_diagonal_.num_vgpr, 6
	.set _ZN9rocsolver6v33100L8copy_matIdPdNS0_7no_maskEEEvNS0_17copymat_directionEiiT0_iilPT_T1_13rocblas_fill_17rocblas_diagonal_.num_agpr, 0
	.set _ZN9rocsolver6v33100L8copy_matIdPdNS0_7no_maskEEEvNS0_17copymat_directionEiiT0_iilPT_T1_13rocblas_fill_17rocblas_diagonal_.numbered_sgpr, 24
	.set _ZN9rocsolver6v33100L8copy_matIdPdNS0_7no_maskEEEvNS0_17copymat_directionEiiT0_iilPT_T1_13rocblas_fill_17rocblas_diagonal_.num_named_barrier, 0
	.set _ZN9rocsolver6v33100L8copy_matIdPdNS0_7no_maskEEEvNS0_17copymat_directionEiiT0_iilPT_T1_13rocblas_fill_17rocblas_diagonal_.private_seg_size, 0
	.set _ZN9rocsolver6v33100L8copy_matIdPdNS0_7no_maskEEEvNS0_17copymat_directionEiiT0_iilPT_T1_13rocblas_fill_17rocblas_diagonal_.uses_vcc, 1
	.set _ZN9rocsolver6v33100L8copy_matIdPdNS0_7no_maskEEEvNS0_17copymat_directionEiiT0_iilPT_T1_13rocblas_fill_17rocblas_diagonal_.uses_flat_scratch, 0
	.set _ZN9rocsolver6v33100L8copy_matIdPdNS0_7no_maskEEEvNS0_17copymat_directionEiiT0_iilPT_T1_13rocblas_fill_17rocblas_diagonal_.has_dyn_sized_stack, 0
	.set _ZN9rocsolver6v33100L8copy_matIdPdNS0_7no_maskEEEvNS0_17copymat_directionEiiT0_iilPT_T1_13rocblas_fill_17rocblas_diagonal_.has_recursion, 0
	.set _ZN9rocsolver6v33100L8copy_matIdPdNS0_7no_maskEEEvNS0_17copymat_directionEiiT0_iilPT_T1_13rocblas_fill_17rocblas_diagonal_.has_indirect_call, 0
	.section	.AMDGPU.csdata,"",@progbits
; Kernel info:
; codeLenInByte = 504
; TotalNumSgprs: 28
; NumVgprs: 6
; ScratchSize: 0
; MemoryBound: 0
; FloatMode: 240
; IeeeMode: 1
; LDSByteSize: 0 bytes/workgroup (compile time only)
; SGPRBlocks: 3
; VGPRBlocks: 1
; NumSGPRsForWavesPerEU: 28
; NumVGPRsForWavesPerEU: 6
; Occupancy: 10
; WaveLimiterHint : 0
; COMPUTE_PGM_RSRC2:SCRATCH_EN: 0
; COMPUTE_PGM_RSRC2:USER_SGPR: 6
; COMPUTE_PGM_RSRC2:TRAP_HANDLER: 0
; COMPUTE_PGM_RSRC2:TGID_X_EN: 1
; COMPUTE_PGM_RSRC2:TGID_Y_EN: 1
; COMPUTE_PGM_RSRC2:TGID_Z_EN: 1
; COMPUTE_PGM_RSRC2:TIDIG_COMP_CNT: 1
	.section	.text._ZN9rocsolver6v33100L11stedc_copyDIdEEviPT_lS3_l,"axG",@progbits,_ZN9rocsolver6v33100L11stedc_copyDIdEEviPT_lS3_l,comdat
	.globl	_ZN9rocsolver6v33100L11stedc_copyDIdEEviPT_lS3_l ; -- Begin function _ZN9rocsolver6v33100L11stedc_copyDIdEEviPT_lS3_l
	.p2align	8
	.type	_ZN9rocsolver6v33100L11stedc_copyDIdEEviPT_lS3_l,@function
_ZN9rocsolver6v33100L11stedc_copyDIdEEviPT_lS3_l: ; @_ZN9rocsolver6v33100L11stedc_copyDIdEEviPT_lS3_l
; %bb.0:
	s_load_dword s0, s[4:5], 0x34
	s_load_dword s37, s[4:5], 0x0
	s_waitcnt lgkmcnt(0)
	s_and_b32 s33, s0, 0xffff
	s_lshl_b32 s36, s33, 4
	v_cvt_f32_u32_e32 v1, s36
	s_sub_i32 s2, 0, s36
	s_add_i32 s0, s37, -1
	s_ashr_i32 s1, s0, 31
	v_rcp_iflag_f32_e32 v1, v1
	s_abs_i32 s0, s0
	v_mul_f32_e32 v1, 0x4f7ffffe, v1
	v_cvt_u32_f32_e32 v1, v1
	v_readfirstlane_b32 s3, v1
	s_mul_i32 s2, s2, s3
	s_mul_hi_u32 s2, s3, s2
	s_add_i32 s3, s3, s2
	s_mul_hi_u32 s2, s0, s3
	s_mul_i32 s3, s2, s36
	s_sub_i32 s0, s0, s3
	s_add_i32 s6, s2, 1
	s_sub_i32 s3, s0, s36
	s_cmp_ge_u32 s0, s36
	s_cselect_b32 s2, s6, s2
	s_cselect_b32 s0, s3, s0
	s_add_i32 s3, s2, 1
	s_cmp_ge_u32 s0, s36
	s_cselect_b32 s0, s3, s2
	s_xor_b32 s0, s0, s1
	s_sub_i32 s0, s0, s1
	s_cmp_lt_i32 s0, 0
	s_cbranch_scc1 .LBB52_67
; %bb.1:
	s_load_dwordx8 s[8:15], s[4:5], 0x8
	s_ashr_i32 s1, s7, 31
	v_mov_b32_e32 v2, 0
	s_mul_i32 s44, s33, 3
	s_mul_i32 s46, s33, 5
	s_waitcnt lgkmcnt(0)
	s_mul_hi_u32 s3, s10, s7
	s_mul_i32 s4, s10, s1
	s_mul_i32 s5, s11, s7
	s_add_i32 s3, s3, s4
	s_mul_i32 s2, s10, s7
	s_add_i32 s3, s3, s5
	s_lshl_b64 s[2:3], s[2:3], 3
	s_add_u32 s38, s8, s2
	s_mul_hi_u32 s2, s14, s7
	s_mul_i32 s1, s14, s1
	s_addc_u32 s39, s9, s3
	s_add_i32 s1, s2, s1
	s_mul_i32 s2, s15, s7
	s_add_i32 s3, s1, s2
	s_mul_i32 s2, s14, s7
	s_lshl_b64 s[2:3], s[2:3], 3
	s_add_u32 s40, s12, s2
	s_addc_u32 s41, s13, s3
	s_add_i32 s42, s0, 1
	s_lshl_b32 s43, s33, 1
	s_lshl_b32 s45, s33, 2
	s_mul_i32 s47, s33, 6
	s_mul_i32 s48, s33, 7
	s_lshl_b32 s49, s33, 3
	s_mul_i32 s50, s33, 9
	s_mul_i32 s51, s33, 10
	;; [unrolled: 1-line block ×7, first 2 shown]
	v_mov_b32_e32 v3, v2
	v_mov_b32_e32 v4, v2
	;; [unrolled: 1-line block ×31, first 2 shown]
	s_branch .LBB52_3
.LBB52_2:                               ;   in Loop: Header=BB52_3 Depth=1
	s_or_b64 exec, exec, s[0:1]
	s_add_i32 s42, s42, -1
	s_cmp_eq_u32 s42, 0
	v_add_u32_e32 v0, s36, v0
	s_cbranch_scc1 .LBB52_67
.LBB52_3:                               ; =>This Inner Loop Header: Depth=1
	v_cmp_gt_i32_e32 vcc, s37, v0
	v_ashrrev_i32_e32 v1, 31, v0
	s_and_saveexec_b64 s[2:3], vcc
	s_cbranch_execz .LBB52_5
; %bb.4:                                ;   in Loop: Header=BB52_3 Depth=1
	s_waitcnt vmcnt(0)
	v_lshlrev_b64 v[2:3], 3, v[0:1]
	v_mov_b32_e32 v34, s39
	v_add_co_u32_e64 v2, s[0:1], s38, v2
	v_addc_co_u32_e64 v3, s[0:1], v34, v3, s[0:1]
	global_load_dwordx2 v[2:3], v[2:3], off
.LBB52_5:                               ;   in Loop: Header=BB52_3 Depth=1
	s_or_b64 exec, exec, s[2:3]
	v_add_u32_e32 v34, s33, v0
	v_cmp_gt_i32_e64 s[0:1], s37, v34
	v_ashrrev_i32_e32 v35, 31, v34
	s_and_saveexec_b64 s[4:5], s[0:1]
	s_cbranch_execz .LBB52_7
; %bb.6:                                ;   in Loop: Header=BB52_3 Depth=1
	s_waitcnt vmcnt(0)
	v_lshlrev_b64 v[4:5], 3, v[34:35]
	v_mov_b32_e32 v36, s39
	v_add_co_u32_e64 v4, s[2:3], s38, v4
	v_addc_co_u32_e64 v5, s[2:3], v36, v5, s[2:3]
	global_load_dwordx2 v[4:5], v[4:5], off
.LBB52_7:                               ;   in Loop: Header=BB52_3 Depth=1
	s_or_b64 exec, exec, s[4:5]
	v_add_u32_e32 v36, s43, v0
	v_add_u32_e32 v39, s33, v34
	v_cmp_gt_i32_e64 s[2:3], s37, v39
	v_ashrrev_i32_e32 v37, 31, v36
	s_and_saveexec_b64 s[6:7], s[2:3]
	s_cbranch_execz .LBB52_9
; %bb.8:                                ;   in Loop: Header=BB52_3 Depth=1
	s_waitcnt vmcnt(0)
	v_lshlrev_b64 v[6:7], 3, v[36:37]
	v_mov_b32_e32 v38, s39
	v_add_co_u32_e64 v6, s[4:5], s38, v6
	v_addc_co_u32_e64 v7, s[4:5], v38, v7, s[4:5]
	global_load_dwordx2 v[6:7], v[6:7], off
.LBB52_9:                               ;   in Loop: Header=BB52_3 Depth=1
	s_or_b64 exec, exec, s[6:7]
	v_add_u32_e32 v38, s44, v0
	v_add_u32_e32 v41, s33, v39
	v_cmp_gt_i32_e64 s[4:5], s37, v41
	v_ashrrev_i32_e32 v39, 31, v38
	s_and_saveexec_b64 s[8:9], s[4:5]
	s_cbranch_execz .LBB52_11
; %bb.10:                               ;   in Loop: Header=BB52_3 Depth=1
	s_waitcnt vmcnt(0)
	v_lshlrev_b64 v[8:9], 3, v[38:39]
	v_mov_b32_e32 v40, s39
	v_add_co_u32_e64 v8, s[6:7], s38, v8
	v_addc_co_u32_e64 v9, s[6:7], v40, v9, s[6:7]
	global_load_dwordx2 v[8:9], v[8:9], off
.LBB52_11:                              ;   in Loop: Header=BB52_3 Depth=1
	s_or_b64 exec, exec, s[8:9]
	v_add_u32_e32 v40, s45, v0
	v_add_u32_e32 v43, s33, v41
	v_cmp_gt_i32_e64 s[6:7], s37, v43
	v_ashrrev_i32_e32 v41, 31, v40
	s_and_saveexec_b64 s[10:11], s[6:7]
	s_cbranch_execz .LBB52_13
; %bb.12:                               ;   in Loop: Header=BB52_3 Depth=1
	s_waitcnt vmcnt(0)
	v_lshlrev_b64 v[10:11], 3, v[40:41]
	v_mov_b32_e32 v42, s39
	v_add_co_u32_e64 v10, s[8:9], s38, v10
	v_addc_co_u32_e64 v11, s[8:9], v42, v11, s[8:9]
	global_load_dwordx2 v[10:11], v[10:11], off
.LBB52_13:                              ;   in Loop: Header=BB52_3 Depth=1
	;; [unrolled: 15-line block ×12, first 2 shown]
	s_or_b64 exec, exec, s[30:31]
	v_add_u32_e32 v62, s56, v0
	v_add_u32_e32 v63, s33, v63
	v_cmp_gt_i32_e64 s[28:29], s37, v63
	v_ashrrev_i32_e32 v63, 31, v62
	s_and_saveexec_b64 s[34:35], s[28:29]
	s_cbranch_execnz .LBB52_50
; %bb.34:                               ;   in Loop: Header=BB52_3 Depth=1
	s_or_b64 exec, exec, s[34:35]
	s_and_saveexec_b64 s[30:31], vcc
	s_cbranch_execnz .LBB52_51
.LBB52_35:                              ;   in Loop: Header=BB52_3 Depth=1
	s_or_b64 exec, exec, s[30:31]
	s_and_saveexec_b64 s[30:31], s[0:1]
	s_cbranch_execnz .LBB52_52
.LBB52_36:                              ;   in Loop: Header=BB52_3 Depth=1
	s_or_b64 exec, exec, s[30:31]
	s_and_saveexec_b64 s[0:1], s[2:3]
	s_cbranch_execnz .LBB52_53
.LBB52_37:                              ;   in Loop: Header=BB52_3 Depth=1
	s_or_b64 exec, exec, s[0:1]
	s_and_saveexec_b64 s[0:1], s[4:5]
	s_cbranch_execnz .LBB52_54
.LBB52_38:                              ;   in Loop: Header=BB52_3 Depth=1
	s_or_b64 exec, exec, s[0:1]
	s_and_saveexec_b64 s[0:1], s[6:7]
	s_cbranch_execnz .LBB52_55
.LBB52_39:                              ;   in Loop: Header=BB52_3 Depth=1
	s_or_b64 exec, exec, s[0:1]
	s_and_saveexec_b64 s[0:1], s[8:9]
	s_cbranch_execnz .LBB52_56
.LBB52_40:                              ;   in Loop: Header=BB52_3 Depth=1
	s_or_b64 exec, exec, s[0:1]
	s_and_saveexec_b64 s[0:1], s[10:11]
	s_cbranch_execnz .LBB52_57
.LBB52_41:                              ;   in Loop: Header=BB52_3 Depth=1
	s_or_b64 exec, exec, s[0:1]
	s_and_saveexec_b64 s[0:1], s[12:13]
	s_cbranch_execnz .LBB52_58
.LBB52_42:                              ;   in Loop: Header=BB52_3 Depth=1
	s_or_b64 exec, exec, s[0:1]
	s_and_saveexec_b64 s[0:1], s[14:15]
	s_cbranch_execnz .LBB52_59
.LBB52_43:                              ;   in Loop: Header=BB52_3 Depth=1
	s_or_b64 exec, exec, s[0:1]
	s_and_saveexec_b64 s[0:1], s[16:17]
	s_cbranch_execnz .LBB52_60
.LBB52_44:                              ;   in Loop: Header=BB52_3 Depth=1
	s_or_b64 exec, exec, s[0:1]
	s_and_saveexec_b64 s[0:1], s[18:19]
	s_cbranch_execnz .LBB52_61
.LBB52_45:                              ;   in Loop: Header=BB52_3 Depth=1
	s_or_b64 exec, exec, s[0:1]
	s_and_saveexec_b64 s[0:1], s[20:21]
	s_cbranch_execnz .LBB52_62
.LBB52_46:                              ;   in Loop: Header=BB52_3 Depth=1
	s_or_b64 exec, exec, s[0:1]
	s_and_saveexec_b64 s[0:1], s[22:23]
	s_cbranch_execnz .LBB52_63
.LBB52_47:                              ;   in Loop: Header=BB52_3 Depth=1
	s_or_b64 exec, exec, s[0:1]
	s_and_saveexec_b64 s[0:1], s[24:25]
	s_cbranch_execnz .LBB52_64
.LBB52_48:                              ;   in Loop: Header=BB52_3 Depth=1
	s_or_b64 exec, exec, s[0:1]
	s_and_saveexec_b64 s[0:1], s[26:27]
	s_cbranch_execnz .LBB52_65
.LBB52_49:                              ;   in Loop: Header=BB52_3 Depth=1
	s_or_b64 exec, exec, s[0:1]
	s_and_saveexec_b64 s[0:1], s[28:29]
	s_cbranch_execz .LBB52_2
	s_branch .LBB52_66
.LBB52_50:                              ;   in Loop: Header=BB52_3 Depth=1
	s_waitcnt vmcnt(0)
	v_lshlrev_b64 v[32:33], 3, v[62:63]
	v_mov_b32_e32 v64, s39
	v_add_co_u32_e64 v32, s[30:31], s38, v32
	v_addc_co_u32_e64 v33, s[30:31], v64, v33, s[30:31]
	global_load_dwordx2 v[32:33], v[32:33], off
	s_or_b64 exec, exec, s[34:35]
	s_and_saveexec_b64 s[30:31], vcc
	s_cbranch_execz .LBB52_35
.LBB52_51:                              ;   in Loop: Header=BB52_3 Depth=1
	v_lshlrev_b64 v[64:65], 3, v[0:1]
	v_mov_b32_e32 v1, s41
	v_add_co_u32_e32 v64, vcc, s40, v64
	v_addc_co_u32_e32 v65, vcc, v1, v65, vcc
	s_waitcnt vmcnt(0)
	global_store_dwordx2 v[64:65], v[2:3], off
	s_or_b64 exec, exec, s[30:31]
	s_and_saveexec_b64 s[30:31], s[0:1]
	s_cbranch_execz .LBB52_36
.LBB52_52:                              ;   in Loop: Header=BB52_3 Depth=1
	v_lshlrev_b64 v[34:35], 3, v[34:35]
	v_mov_b32_e32 v1, s41
	v_add_co_u32_e32 v34, vcc, s40, v34
	v_addc_co_u32_e32 v35, vcc, v1, v35, vcc
	s_waitcnt vmcnt(0)
	global_store_dwordx2 v[34:35], v[4:5], off
	s_or_b64 exec, exec, s[30:31]
	s_and_saveexec_b64 s[0:1], s[2:3]
	s_cbranch_execz .LBB52_37
.LBB52_53:                              ;   in Loop: Header=BB52_3 Depth=1
	v_lshlrev_b64 v[34:35], 3, v[36:37]
	v_mov_b32_e32 v1, s41
	v_add_co_u32_e32 v34, vcc, s40, v34
	v_addc_co_u32_e32 v35, vcc, v1, v35, vcc
	s_waitcnt vmcnt(0)
	global_store_dwordx2 v[34:35], v[6:7], off
	s_or_b64 exec, exec, s[0:1]
	s_and_saveexec_b64 s[0:1], s[4:5]
	s_cbranch_execz .LBB52_38
.LBB52_54:                              ;   in Loop: Header=BB52_3 Depth=1
	v_lshlrev_b64 v[34:35], 3, v[38:39]
	v_mov_b32_e32 v1, s41
	v_add_co_u32_e32 v34, vcc, s40, v34
	v_addc_co_u32_e32 v35, vcc, v1, v35, vcc
	s_waitcnt vmcnt(0)
	global_store_dwordx2 v[34:35], v[8:9], off
	s_or_b64 exec, exec, s[0:1]
	s_and_saveexec_b64 s[0:1], s[6:7]
	s_cbranch_execz .LBB52_39
.LBB52_55:                              ;   in Loop: Header=BB52_3 Depth=1
	v_lshlrev_b64 v[34:35], 3, v[40:41]
	v_mov_b32_e32 v1, s41
	v_add_co_u32_e32 v34, vcc, s40, v34
	v_addc_co_u32_e32 v35, vcc, v1, v35, vcc
	s_waitcnt vmcnt(0)
	global_store_dwordx2 v[34:35], v[10:11], off
	s_or_b64 exec, exec, s[0:1]
	s_and_saveexec_b64 s[0:1], s[8:9]
	s_cbranch_execz .LBB52_40
.LBB52_56:                              ;   in Loop: Header=BB52_3 Depth=1
	v_lshlrev_b64 v[34:35], 3, v[42:43]
	v_mov_b32_e32 v1, s41
	v_add_co_u32_e32 v34, vcc, s40, v34
	v_addc_co_u32_e32 v35, vcc, v1, v35, vcc
	s_waitcnt vmcnt(0)
	global_store_dwordx2 v[34:35], v[12:13], off
	s_or_b64 exec, exec, s[0:1]
	s_and_saveexec_b64 s[0:1], s[10:11]
	s_cbranch_execz .LBB52_41
.LBB52_57:                              ;   in Loop: Header=BB52_3 Depth=1
	v_lshlrev_b64 v[34:35], 3, v[44:45]
	v_mov_b32_e32 v1, s41
	v_add_co_u32_e32 v34, vcc, s40, v34
	v_addc_co_u32_e32 v35, vcc, v1, v35, vcc
	s_waitcnt vmcnt(0)
	global_store_dwordx2 v[34:35], v[14:15], off
	s_or_b64 exec, exec, s[0:1]
	s_and_saveexec_b64 s[0:1], s[12:13]
	s_cbranch_execz .LBB52_42
.LBB52_58:                              ;   in Loop: Header=BB52_3 Depth=1
	v_lshlrev_b64 v[34:35], 3, v[46:47]
	v_mov_b32_e32 v1, s41
	v_add_co_u32_e32 v34, vcc, s40, v34
	v_addc_co_u32_e32 v35, vcc, v1, v35, vcc
	s_waitcnt vmcnt(0)
	global_store_dwordx2 v[34:35], v[16:17], off
	s_or_b64 exec, exec, s[0:1]
	s_and_saveexec_b64 s[0:1], s[14:15]
	s_cbranch_execz .LBB52_43
.LBB52_59:                              ;   in Loop: Header=BB52_3 Depth=1
	v_lshlrev_b64 v[34:35], 3, v[48:49]
	v_mov_b32_e32 v1, s41
	v_add_co_u32_e32 v34, vcc, s40, v34
	v_addc_co_u32_e32 v35, vcc, v1, v35, vcc
	s_waitcnt vmcnt(0)
	global_store_dwordx2 v[34:35], v[18:19], off
	s_or_b64 exec, exec, s[0:1]
	s_and_saveexec_b64 s[0:1], s[16:17]
	s_cbranch_execz .LBB52_44
.LBB52_60:                              ;   in Loop: Header=BB52_3 Depth=1
	v_lshlrev_b64 v[34:35], 3, v[50:51]
	v_mov_b32_e32 v1, s41
	v_add_co_u32_e32 v34, vcc, s40, v34
	v_addc_co_u32_e32 v35, vcc, v1, v35, vcc
	s_waitcnt vmcnt(0)
	global_store_dwordx2 v[34:35], v[20:21], off
	s_or_b64 exec, exec, s[0:1]
	s_and_saveexec_b64 s[0:1], s[18:19]
	s_cbranch_execz .LBB52_45
.LBB52_61:                              ;   in Loop: Header=BB52_3 Depth=1
	v_lshlrev_b64 v[34:35], 3, v[52:53]
	v_mov_b32_e32 v1, s41
	v_add_co_u32_e32 v34, vcc, s40, v34
	v_addc_co_u32_e32 v35, vcc, v1, v35, vcc
	s_waitcnt vmcnt(0)
	global_store_dwordx2 v[34:35], v[22:23], off
	s_or_b64 exec, exec, s[0:1]
	s_and_saveexec_b64 s[0:1], s[20:21]
	s_cbranch_execz .LBB52_46
.LBB52_62:                              ;   in Loop: Header=BB52_3 Depth=1
	v_lshlrev_b64 v[34:35], 3, v[54:55]
	v_mov_b32_e32 v1, s41
	v_add_co_u32_e32 v34, vcc, s40, v34
	v_addc_co_u32_e32 v35, vcc, v1, v35, vcc
	s_waitcnt vmcnt(0)
	global_store_dwordx2 v[34:35], v[24:25], off
	s_or_b64 exec, exec, s[0:1]
	s_and_saveexec_b64 s[0:1], s[22:23]
	s_cbranch_execz .LBB52_47
.LBB52_63:                              ;   in Loop: Header=BB52_3 Depth=1
	v_lshlrev_b64 v[34:35], 3, v[56:57]
	v_mov_b32_e32 v1, s41
	v_add_co_u32_e32 v34, vcc, s40, v34
	v_addc_co_u32_e32 v35, vcc, v1, v35, vcc
	s_waitcnt vmcnt(0)
	global_store_dwordx2 v[34:35], v[26:27], off
	s_or_b64 exec, exec, s[0:1]
	s_and_saveexec_b64 s[0:1], s[24:25]
	s_cbranch_execz .LBB52_48
.LBB52_64:                              ;   in Loop: Header=BB52_3 Depth=1
	v_lshlrev_b64 v[34:35], 3, v[58:59]
	v_mov_b32_e32 v1, s41
	v_add_co_u32_e32 v34, vcc, s40, v34
	v_addc_co_u32_e32 v35, vcc, v1, v35, vcc
	s_waitcnt vmcnt(0)
	global_store_dwordx2 v[34:35], v[28:29], off
	s_or_b64 exec, exec, s[0:1]
	s_and_saveexec_b64 s[0:1], s[26:27]
	s_cbranch_execz .LBB52_49
.LBB52_65:                              ;   in Loop: Header=BB52_3 Depth=1
	v_lshlrev_b64 v[34:35], 3, v[60:61]
	v_mov_b32_e32 v1, s41
	v_add_co_u32_e32 v34, vcc, s40, v34
	v_addc_co_u32_e32 v35, vcc, v1, v35, vcc
	s_waitcnt vmcnt(0)
	global_store_dwordx2 v[34:35], v[30:31], off
	s_or_b64 exec, exec, s[0:1]
	s_and_saveexec_b64 s[0:1], s[28:29]
	s_cbranch_execz .LBB52_2
.LBB52_66:                              ;   in Loop: Header=BB52_3 Depth=1
	v_lshlrev_b64 v[34:35], 3, v[62:63]
	v_mov_b32_e32 v1, s41
	v_add_co_u32_e32 v34, vcc, s40, v34
	v_addc_co_u32_e32 v35, vcc, v1, v35, vcc
	s_waitcnt vmcnt(0)
	global_store_dwordx2 v[34:35], v[32:33], off
	s_branch .LBB52_2
.LBB52_67:
	s_endpgm
	.section	.rodata,"a",@progbits
	.p2align	6, 0x0
	.amdhsa_kernel _ZN9rocsolver6v33100L11stedc_copyDIdEEviPT_lS3_l
		.amdhsa_group_segment_fixed_size 0
		.amdhsa_private_segment_fixed_size 0
		.amdhsa_kernarg_size 296
		.amdhsa_user_sgpr_count 6
		.amdhsa_user_sgpr_private_segment_buffer 1
		.amdhsa_user_sgpr_dispatch_ptr 0
		.amdhsa_user_sgpr_queue_ptr 0
		.amdhsa_user_sgpr_kernarg_segment_ptr 1
		.amdhsa_user_sgpr_dispatch_id 0
		.amdhsa_user_sgpr_flat_scratch_init 0
		.amdhsa_user_sgpr_private_segment_size 0
		.amdhsa_uses_dynamic_stack 0
		.amdhsa_system_sgpr_private_segment_wavefront_offset 0
		.amdhsa_system_sgpr_workgroup_id_x 1
		.amdhsa_system_sgpr_workgroup_id_y 1
		.amdhsa_system_sgpr_workgroup_id_z 0
		.amdhsa_system_sgpr_workgroup_info 0
		.amdhsa_system_vgpr_workitem_id 0
		.amdhsa_next_free_vgpr 66
		.amdhsa_next_free_sgpr 57
		.amdhsa_reserve_vcc 1
		.amdhsa_reserve_flat_scratch 0
		.amdhsa_float_round_mode_32 0
		.amdhsa_float_round_mode_16_64 0
		.amdhsa_float_denorm_mode_32 3
		.amdhsa_float_denorm_mode_16_64 3
		.amdhsa_dx10_clamp 1
		.amdhsa_ieee_mode 1
		.amdhsa_fp16_overflow 0
		.amdhsa_exception_fp_ieee_invalid_op 0
		.amdhsa_exception_fp_denorm_src 0
		.amdhsa_exception_fp_ieee_div_zero 0
		.amdhsa_exception_fp_ieee_overflow 0
		.amdhsa_exception_fp_ieee_underflow 0
		.amdhsa_exception_fp_ieee_inexact 0
		.amdhsa_exception_int_div_zero 0
	.end_amdhsa_kernel
	.section	.text._ZN9rocsolver6v33100L11stedc_copyDIdEEviPT_lS3_l,"axG",@progbits,_ZN9rocsolver6v33100L11stedc_copyDIdEEviPT_lS3_l,comdat
.Lfunc_end52:
	.size	_ZN9rocsolver6v33100L11stedc_copyDIdEEviPT_lS3_l, .Lfunc_end52-_ZN9rocsolver6v33100L11stedc_copyDIdEEviPT_lS3_l
                                        ; -- End function
	.set _ZN9rocsolver6v33100L11stedc_copyDIdEEviPT_lS3_l.num_vgpr, 66
	.set _ZN9rocsolver6v33100L11stedc_copyDIdEEviPT_lS3_l.num_agpr, 0
	.set _ZN9rocsolver6v33100L11stedc_copyDIdEEviPT_lS3_l.numbered_sgpr, 57
	.set _ZN9rocsolver6v33100L11stedc_copyDIdEEviPT_lS3_l.num_named_barrier, 0
	.set _ZN9rocsolver6v33100L11stedc_copyDIdEEviPT_lS3_l.private_seg_size, 0
	.set _ZN9rocsolver6v33100L11stedc_copyDIdEEviPT_lS3_l.uses_vcc, 1
	.set _ZN9rocsolver6v33100L11stedc_copyDIdEEviPT_lS3_l.uses_flat_scratch, 0
	.set _ZN9rocsolver6v33100L11stedc_copyDIdEEviPT_lS3_l.has_dyn_sized_stack, 0
	.set _ZN9rocsolver6v33100L11stedc_copyDIdEEviPT_lS3_l.has_recursion, 0
	.set _ZN9rocsolver6v33100L11stedc_copyDIdEEviPT_lS3_l.has_indirect_call, 0
	.section	.AMDGPU.csdata,"",@progbits
; Kernel info:
; codeLenInByte = 2484
; TotalNumSgprs: 61
; NumVgprs: 66
; ScratchSize: 0
; MemoryBound: 0
; FloatMode: 240
; IeeeMode: 1
; LDSByteSize: 0 bytes/workgroup (compile time only)
; SGPRBlocks: 7
; VGPRBlocks: 16
; NumSGPRsForWavesPerEU: 61
; NumVGPRsForWavesPerEU: 66
; Occupancy: 3
; WaveLimiterHint : 0
; COMPUTE_PGM_RSRC2:SCRATCH_EN: 0
; COMPUTE_PGM_RSRC2:USER_SGPR: 6
; COMPUTE_PGM_RSRC2:TRAP_HANDLER: 0
; COMPUTE_PGM_RSRC2:TGID_X_EN: 1
; COMPUTE_PGM_RSRC2:TGID_Y_EN: 1
; COMPUTE_PGM_RSRC2:TGID_Z_EN: 0
; COMPUTE_PGM_RSRC2:TIDIG_COMP_CNT: 0
	.section	.text._ZN9rocsolver6v33100L10stedc_sortIddPdS2_EEviPT0_lS4_lT1_iilT2_iil,"axG",@progbits,_ZN9rocsolver6v33100L10stedc_sortIddPdS2_EEviPT0_lS4_lT1_iilT2_iil,comdat
	.globl	_ZN9rocsolver6v33100L10stedc_sortIddPdS2_EEviPT0_lS4_lT1_iilT2_iil ; -- Begin function _ZN9rocsolver6v33100L10stedc_sortIddPdS2_EEviPT0_lS4_lT1_iilT2_iil
	.p2align	8
	.type	_ZN9rocsolver6v33100L10stedc_sortIddPdS2_EEviPT0_lS4_lT1_iilT2_iil,@function
_ZN9rocsolver6v33100L10stedc_sortIddPdS2_EEviPT0_lS4_lT1_iilT2_iil: ; @_ZN9rocsolver6v33100L10stedc_sortIddPdS2_EEviPT0_lS4_lT1_iilT2_iil
; %bb.0:
	s_load_dwordx8 s[36:43], s[4:5], 0x8
	s_ashr_i32 s66, s7, 31
	s_load_dword s2, s[4:5], 0x64
	s_mov_b32 s33, s7
	s_load_dword s54, s[4:5], 0x0
	s_waitcnt lgkmcnt(0)
	s_mul_hi_u32 s0, s38, s7
	s_mul_i32 s1, s38, s66
	s_add_i32 s0, s0, s1
	s_mul_i32 s1, s39, s7
	s_add_i32 s1, s0, s1
	s_mul_i32 s0, s38, s7
	s_lshl_b64 s[0:1], s[0:1], 3
	s_add_u32 s67, s36, s0
	s_addc_u32 s68, s37, s1
	s_ashr_i32 s7, s6, 31
	s_lshl_b64 s[44:45], s[6:7], 3
	s_add_u32 s0, s67, s44
	s_addc_u32 s1, s68, s45
	s_and_b32 s52, s2, 0xffff
	s_lshl_b32 s53, s52, 4
	v_cvt_f32_u32_e32 v1, s53
	s_sub_i32 s2, 0, s53
	s_load_dwordx2 s[38:39], s[4:5], 0x28
	s_load_dwordx2 s[46:47], s[0:1], 0x0
	s_add_i32 s0, s54, -1
	v_rcp_iflag_f32_e32 v1, v1
	s_ashr_i32 s1, s0, 31
	s_abs_i32 s0, s0
	s_mul_i32 s55, s52, 3
	v_mul_f32_e32 v1, 0x4f7ffffe, v1
	v_cvt_u32_f32_e32 v1, v1
	s_mul_i32 s56, s52, 5
	s_mul_i32 s57, s52, 6
	;; [unrolled: 1-line block ×3, first 2 shown]
	v_readfirstlane_b32 s3, v1
	s_mul_i32 s2, s2, s3
	s_mul_hi_u32 s2, s3, s2
	s_add_i32 s3, s3, s2
	s_mul_hi_u32 s2, s0, s3
	s_mul_i32 s3, s2, s53
	s_sub_i32 s0, s0, s3
	s_add_i32 s3, s2, 1
	s_sub_i32 s7, s0, s53
	s_cmp_ge_u32 s0, s53
	s_cselect_b32 s2, s3, s2
	s_cselect_b32 s0, s7, s0
	s_add_i32 s3, s2, 1
	s_cmp_ge_u32 s0, s53
	s_cselect_b32 s0, s3, s2
	s_xor_b32 s0, s0, s1
	s_sub_i32 s7, s0, s1
	s_cmp_gt_i32 s7, -1
	s_cselect_b64 s[48:49], -1, 0
	s_cmp_lt_i32 s7, 0
	s_mul_i32 s59, s52, 9
	s_mul_i32 s60, s52, 10
	;; [unrolled: 1-line block ×7, first 2 shown]
	s_cbranch_scc1 .LBB53_67
; %bb.1:
	v_mov_b32_e32 v1, 0
	v_mov_b32_e32 v2, v1
	;; [unrolled: 1-line block ×33, first 2 shown]
	s_add_i32 s69, s7, 1
	s_lshl_b32 s70, s52, 1
	s_lshl_b32 s71, s52, 2
	;; [unrolled: 1-line block ×3, first 2 shown]
	v_mov_b32_e32 v34, v0
	v_mov_b32_e32 v65, v1
	;; [unrolled: 1-line block ×34, first 2 shown]
	s_branch .LBB53_3
.LBB53_2:                               ;   in Loop: Header=BB53_3 Depth=1
	s_or_b64 exec, exec, s[2:3]
	s_add_i32 s69, s69, -1
	s_cmp_eq_u32 s69, 0
	v_add_u32_e32 v34, s53, v34
	s_cbranch_scc1 .LBB53_68
.LBB53_3:                               ; =>This Inner Loop Header: Depth=1
	v_cmp_gt_i32_e64 s[34:35], s54, v34
	s_and_saveexec_b64 s[0:1], s[34:35]
	s_cbranch_execz .LBB53_5
; %bb.4:                                ;   in Loop: Header=BB53_3 Depth=1
	v_ashrrev_i32_e32 v35, 31, v34
	s_waitcnt vmcnt(0)
	v_lshlrev_b64 v[2:3], 3, v[34:35]
	v_mov_b32_e32 v35, s68
	v_add_co_u32_e32 v2, vcc, s67, v2
	v_addc_co_u32_e32 v3, vcc, v35, v3, vcc
	global_load_dwordx2 v[2:3], v[2:3], off
.LBB53_5:                               ;   in Loop: Header=BB53_3 Depth=1
	s_or_b64 exec, exec, s[0:1]
	v_add_u32_e32 v63, s52, v34
	v_cmp_gt_i32_e64 s[30:31], s54, v63
	s_and_saveexec_b64 s[0:1], s[30:31]
	s_cbranch_execz .LBB53_7
; %bb.6:                                ;   in Loop: Header=BB53_3 Depth=1
	v_ashrrev_i32_e32 v64, 31, v63
	s_waitcnt vmcnt(0)
	v_lshlrev_b64 v[4:5], 3, v[63:64]
	v_mov_b32_e32 v35, s68
	v_add_co_u32_e32 v4, vcc, s67, v4
	v_addc_co_u32_e32 v5, vcc, v35, v5, vcc
	global_load_dwordx2 v[4:5], v[4:5], off
.LBB53_7:                               ;   in Loop: Header=BB53_3 Depth=1
	s_or_b64 exec, exec, s[0:1]
	v_add_u32_e32 v61, s70, v34
	;; [unrolled: 14-line block ×3, first 2 shown]
	v_cmp_gt_i32_e64 s[26:27], s54, v59
	s_and_saveexec_b64 s[0:1], s[26:27]
	s_cbranch_execz .LBB53_11
; %bb.10:                               ;   in Loop: Header=BB53_3 Depth=1
	v_ashrrev_i32_e32 v60, 31, v59
	s_waitcnt vmcnt(0)
	v_lshlrev_b64 v[8:9], 3, v[59:60]
	v_mov_b32_e32 v35, s68
	v_add_co_u32_e32 v8, vcc, s67, v8
	v_addc_co_u32_e32 v9, vcc, v35, v9, vcc
	global_load_dwordx2 v[8:9], v[8:9], off
.LBB53_11:                              ;   in Loop: Header=BB53_3 Depth=1
	s_or_b64 exec, exec, s[0:1]
	v_add_u32_e32 v57, s71, v34
	v_cmp_gt_i32_e64 s[24:25], s54, v57
	s_and_saveexec_b64 s[0:1], s[24:25]
	s_cbranch_execz .LBB53_13
; %bb.12:                               ;   in Loop: Header=BB53_3 Depth=1
	v_ashrrev_i32_e32 v58, 31, v57
	s_waitcnt vmcnt(0)
	v_lshlrev_b64 v[10:11], 3, v[57:58]
	v_mov_b32_e32 v35, s68
	v_add_co_u32_e32 v10, vcc, s67, v10
	v_addc_co_u32_e32 v11, vcc, v35, v11, vcc
	global_load_dwordx2 v[10:11], v[10:11], off
.LBB53_13:                              ;   in Loop: Header=BB53_3 Depth=1
	s_or_b64 exec, exec, s[0:1]
	v_add_u32_e32 v55, s56, v34
	;; [unrolled: 14-line block ×12, first 2 shown]
	v_cmp_gt_i32_e32 vcc, s54, v35
	s_and_saveexec_b64 s[50:51], vcc
	s_cbranch_execnz .LBB53_50
; %bb.34:                               ;   in Loop: Header=BB53_3 Depth=1
	s_or_b64 exec, exec, s[50:51]
	s_and_saveexec_b64 s[50:51], s[34:35]
	s_cbranch_execnz .LBB53_51
.LBB53_35:                              ;   in Loop: Header=BB53_3 Depth=1
	s_or_b64 exec, exec, s[50:51]
	s_and_saveexec_b64 s[36:37], s[30:31]
	s_cbranch_execnz .LBB53_52
.LBB53_36:                              ;   in Loop: Header=BB53_3 Depth=1
	s_or_b64 exec, exec, s[36:37]
	s_and_saveexec_b64 s[34:35], s[28:29]
	s_cbranch_execnz .LBB53_53
.LBB53_37:                              ;   in Loop: Header=BB53_3 Depth=1
	s_or_b64 exec, exec, s[34:35]
	s_and_saveexec_b64 s[30:31], s[26:27]
	s_cbranch_execnz .LBB53_54
.LBB53_38:                              ;   in Loop: Header=BB53_3 Depth=1
	s_or_b64 exec, exec, s[30:31]
	s_and_saveexec_b64 s[28:29], s[24:25]
	s_cbranch_execnz .LBB53_55
.LBB53_39:                              ;   in Loop: Header=BB53_3 Depth=1
	s_or_b64 exec, exec, s[28:29]
	s_and_saveexec_b64 s[26:27], s[22:23]
	s_cbranch_execnz .LBB53_56
.LBB53_40:                              ;   in Loop: Header=BB53_3 Depth=1
	s_or_b64 exec, exec, s[26:27]
	s_and_saveexec_b64 s[24:25], s[20:21]
	s_cbranch_execnz .LBB53_57
.LBB53_41:                              ;   in Loop: Header=BB53_3 Depth=1
	s_or_b64 exec, exec, s[24:25]
	s_and_saveexec_b64 s[22:23], s[18:19]
	s_cbranch_execnz .LBB53_58
.LBB53_42:                              ;   in Loop: Header=BB53_3 Depth=1
	s_or_b64 exec, exec, s[22:23]
	s_and_saveexec_b64 s[20:21], s[16:17]
	s_cbranch_execnz .LBB53_59
.LBB53_43:                              ;   in Loop: Header=BB53_3 Depth=1
	s_or_b64 exec, exec, s[20:21]
	s_and_saveexec_b64 s[18:19], s[14:15]
	s_cbranch_execnz .LBB53_60
.LBB53_44:                              ;   in Loop: Header=BB53_3 Depth=1
	s_or_b64 exec, exec, s[18:19]
	s_and_saveexec_b64 s[16:17], s[12:13]
	s_cbranch_execnz .LBB53_61
.LBB53_45:                              ;   in Loop: Header=BB53_3 Depth=1
	s_or_b64 exec, exec, s[16:17]
	s_and_saveexec_b64 s[14:15], s[10:11]
	s_cbranch_execnz .LBB53_62
.LBB53_46:                              ;   in Loop: Header=BB53_3 Depth=1
	s_or_b64 exec, exec, s[14:15]
	s_and_saveexec_b64 s[12:13], s[8:9]
	s_cbranch_execnz .LBB53_63
.LBB53_47:                              ;   in Loop: Header=BB53_3 Depth=1
	s_or_b64 exec, exec, s[12:13]
	s_and_saveexec_b64 s[10:11], s[2:3]
	s_cbranch_execnz .LBB53_64
.LBB53_48:                              ;   in Loop: Header=BB53_3 Depth=1
	s_or_b64 exec, exec, s[10:11]
	s_and_saveexec_b64 s[8:9], s[0:1]
	s_cbranch_execnz .LBB53_65
.LBB53_49:                              ;   in Loop: Header=BB53_3 Depth=1
	s_or_b64 exec, exec, s[8:9]
	s_and_saveexec_b64 s[2:3], vcc
	s_cbranch_execz .LBB53_2
	s_branch .LBB53_66
.LBB53_50:                              ;   in Loop: Header=BB53_3 Depth=1
	v_ashrrev_i32_e32 v36, 31, v35
	s_waitcnt vmcnt(0)
	v_lshlrev_b64 v[32:33], 3, v[35:36]
	v_mov_b32_e32 v36, s68
	v_add_co_u32_e64 v32, s[36:37], s67, v32
	v_addc_co_u32_e64 v33, s[36:37], v36, v33, s[36:37]
	global_load_dwordx2 v[32:33], v[32:33], off
	s_or_b64 exec, exec, s[50:51]
	s_and_saveexec_b64 s[50:51], s[34:35]
	s_cbranch_execz .LBB53_35
.LBB53_51:                              ;   in Loop: Header=BB53_3 Depth=1
	s_waitcnt vmcnt(0)
	v_cmp_u_f64_e64 s[36:37], v[2:3], v[2:3]
	s_waitcnt lgkmcnt(0)
	v_cmp_eq_f64_e64 s[34:35], s[46:47], v[2:3]
	v_addc_co_u32_e64 v1, s[36:37], 0, v1, s[36:37]
	v_cmp_gt_f64_e64 s[36:37], s[46:47], v[2:3]
	v_addc_co_u32_e64 v65, s[36:37], 0, v65, s[36:37]
	v_cmp_gt_i32_e64 s[36:37], s6, v34
	s_and_b64 s[34:35], s[34:35], s[36:37]
	v_addc_co_u32_e64 v66, s[34:35], 0, v66, s[34:35]
	s_or_b64 exec, exec, s[50:51]
	s_and_saveexec_b64 s[36:37], s[30:31]
	s_cbranch_execz .LBB53_36
.LBB53_52:                              ;   in Loop: Header=BB53_3 Depth=1
	s_waitcnt vmcnt(0)
	v_cmp_u_f64_e64 s[34:35], v[4:5], v[4:5]
	s_waitcnt lgkmcnt(0)
	v_cmp_eq_f64_e64 s[30:31], s[46:47], v[4:5]
	v_addc_co_u32_e64 v1, s[34:35], 0, v1, s[34:35]
	v_cmp_gt_f64_e64 s[34:35], s[46:47], v[4:5]
	v_addc_co_u32_e64 v65, s[34:35], 0, v65, s[34:35]
	v_cmp_gt_i32_e64 s[34:35], s6, v63
	s_and_b64 s[30:31], s[30:31], s[34:35]
	v_addc_co_u32_e64 v66, s[30:31], 0, v66, s[30:31]
	s_or_b64 exec, exec, s[36:37]
	s_and_saveexec_b64 s[34:35], s[28:29]
	s_cbranch_execz .LBB53_37
.LBB53_53:                              ;   in Loop: Header=BB53_3 Depth=1
	s_waitcnt vmcnt(0)
	v_cmp_u_f64_e64 s[30:31], v[6:7], v[6:7]
	s_waitcnt lgkmcnt(0)
	v_cmp_eq_f64_e64 s[28:29], s[46:47], v[6:7]
	v_addc_co_u32_e64 v1, s[30:31], 0, v1, s[30:31]
	v_cmp_gt_f64_e64 s[30:31], s[46:47], v[6:7]
	v_addc_co_u32_e64 v65, s[30:31], 0, v65, s[30:31]
	v_cmp_gt_i32_e64 s[30:31], s6, v61
	s_and_b64 s[28:29], s[28:29], s[30:31]
	v_addc_co_u32_e64 v66, s[28:29], 0, v66, s[28:29]
	s_or_b64 exec, exec, s[34:35]
	s_and_saveexec_b64 s[30:31], s[26:27]
	s_cbranch_execz .LBB53_38
.LBB53_54:                              ;   in Loop: Header=BB53_3 Depth=1
	s_waitcnt vmcnt(0)
	v_cmp_u_f64_e64 s[28:29], v[8:9], v[8:9]
	s_waitcnt lgkmcnt(0)
	v_cmp_eq_f64_e64 s[26:27], s[46:47], v[8:9]
	v_addc_co_u32_e64 v1, s[28:29], 0, v1, s[28:29]
	v_cmp_gt_f64_e64 s[28:29], s[46:47], v[8:9]
	v_addc_co_u32_e64 v65, s[28:29], 0, v65, s[28:29]
	v_cmp_gt_i32_e64 s[28:29], s6, v59
	s_and_b64 s[26:27], s[26:27], s[28:29]
	v_addc_co_u32_e64 v66, s[26:27], 0, v66, s[26:27]
	s_or_b64 exec, exec, s[30:31]
	s_and_saveexec_b64 s[28:29], s[24:25]
	s_cbranch_execz .LBB53_39
.LBB53_55:                              ;   in Loop: Header=BB53_3 Depth=1
	s_waitcnt vmcnt(0)
	v_cmp_u_f64_e64 s[26:27], v[10:11], v[10:11]
	s_waitcnt lgkmcnt(0)
	v_cmp_eq_f64_e64 s[24:25], s[46:47], v[10:11]
	v_addc_co_u32_e64 v1, s[26:27], 0, v1, s[26:27]
	v_cmp_gt_f64_e64 s[26:27], s[46:47], v[10:11]
	v_addc_co_u32_e64 v65, s[26:27], 0, v65, s[26:27]
	v_cmp_gt_i32_e64 s[26:27], s6, v57
	s_and_b64 s[24:25], s[24:25], s[26:27]
	v_addc_co_u32_e64 v66, s[24:25], 0, v66, s[24:25]
	s_or_b64 exec, exec, s[28:29]
	s_and_saveexec_b64 s[26:27], s[22:23]
	s_cbranch_execz .LBB53_40
.LBB53_56:                              ;   in Loop: Header=BB53_3 Depth=1
	s_waitcnt vmcnt(0)
	v_cmp_u_f64_e64 s[24:25], v[12:13], v[12:13]
	s_waitcnt lgkmcnt(0)
	v_cmp_eq_f64_e64 s[22:23], s[46:47], v[12:13]
	v_addc_co_u32_e64 v1, s[24:25], 0, v1, s[24:25]
	v_cmp_gt_f64_e64 s[24:25], s[46:47], v[12:13]
	v_addc_co_u32_e64 v65, s[24:25], 0, v65, s[24:25]
	v_cmp_gt_i32_e64 s[24:25], s6, v55
	s_and_b64 s[22:23], s[22:23], s[24:25]
	v_addc_co_u32_e64 v66, s[22:23], 0, v66, s[22:23]
	s_or_b64 exec, exec, s[26:27]
	s_and_saveexec_b64 s[24:25], s[20:21]
	s_cbranch_execz .LBB53_41
.LBB53_57:                              ;   in Loop: Header=BB53_3 Depth=1
	s_waitcnt vmcnt(0)
	v_cmp_u_f64_e64 s[22:23], v[14:15], v[14:15]
	s_waitcnt lgkmcnt(0)
	v_cmp_eq_f64_e64 s[20:21], s[46:47], v[14:15]
	v_addc_co_u32_e64 v1, s[22:23], 0, v1, s[22:23]
	v_cmp_gt_f64_e64 s[22:23], s[46:47], v[14:15]
	v_addc_co_u32_e64 v65, s[22:23], 0, v65, s[22:23]
	v_cmp_gt_i32_e64 s[22:23], s6, v53
	s_and_b64 s[20:21], s[20:21], s[22:23]
	v_addc_co_u32_e64 v66, s[20:21], 0, v66, s[20:21]
	s_or_b64 exec, exec, s[24:25]
	s_and_saveexec_b64 s[22:23], s[18:19]
	s_cbranch_execz .LBB53_42
.LBB53_58:                              ;   in Loop: Header=BB53_3 Depth=1
	s_waitcnt vmcnt(0)
	v_cmp_u_f64_e64 s[20:21], v[16:17], v[16:17]
	s_waitcnt lgkmcnt(0)
	v_cmp_eq_f64_e64 s[18:19], s[46:47], v[16:17]
	v_addc_co_u32_e64 v1, s[20:21], 0, v1, s[20:21]
	v_cmp_gt_f64_e64 s[20:21], s[46:47], v[16:17]
	v_addc_co_u32_e64 v65, s[20:21], 0, v65, s[20:21]
	v_cmp_gt_i32_e64 s[20:21], s6, v51
	s_and_b64 s[18:19], s[18:19], s[20:21]
	v_addc_co_u32_e64 v66, s[18:19], 0, v66, s[18:19]
	s_or_b64 exec, exec, s[22:23]
	s_and_saveexec_b64 s[20:21], s[16:17]
	s_cbranch_execz .LBB53_43
.LBB53_59:                              ;   in Loop: Header=BB53_3 Depth=1
	s_waitcnt vmcnt(0)
	v_cmp_u_f64_e64 s[18:19], v[18:19], v[18:19]
	s_waitcnt lgkmcnt(0)
	v_cmp_eq_f64_e64 s[16:17], s[46:47], v[18:19]
	v_addc_co_u32_e64 v1, s[18:19], 0, v1, s[18:19]
	v_cmp_gt_f64_e64 s[18:19], s[46:47], v[18:19]
	v_addc_co_u32_e64 v65, s[18:19], 0, v65, s[18:19]
	v_cmp_gt_i32_e64 s[18:19], s6, v49
	s_and_b64 s[16:17], s[16:17], s[18:19]
	v_addc_co_u32_e64 v66, s[16:17], 0, v66, s[16:17]
	s_or_b64 exec, exec, s[20:21]
	s_and_saveexec_b64 s[18:19], s[14:15]
	s_cbranch_execz .LBB53_44
.LBB53_60:                              ;   in Loop: Header=BB53_3 Depth=1
	s_waitcnt vmcnt(0)
	v_cmp_u_f64_e64 s[16:17], v[20:21], v[20:21]
	s_waitcnt lgkmcnt(0)
	v_cmp_eq_f64_e64 s[14:15], s[46:47], v[20:21]
	v_addc_co_u32_e64 v1, s[16:17], 0, v1, s[16:17]
	v_cmp_gt_f64_e64 s[16:17], s[46:47], v[20:21]
	v_addc_co_u32_e64 v65, s[16:17], 0, v65, s[16:17]
	v_cmp_gt_i32_e64 s[16:17], s6, v47
	s_and_b64 s[14:15], s[14:15], s[16:17]
	v_addc_co_u32_e64 v66, s[14:15], 0, v66, s[14:15]
	s_or_b64 exec, exec, s[18:19]
	s_and_saveexec_b64 s[16:17], s[12:13]
	s_cbranch_execz .LBB53_45
.LBB53_61:                              ;   in Loop: Header=BB53_3 Depth=1
	s_waitcnt vmcnt(0)
	v_cmp_u_f64_e64 s[14:15], v[22:23], v[22:23]
	s_waitcnt lgkmcnt(0)
	v_cmp_eq_f64_e64 s[12:13], s[46:47], v[22:23]
	v_addc_co_u32_e64 v1, s[14:15], 0, v1, s[14:15]
	v_cmp_gt_f64_e64 s[14:15], s[46:47], v[22:23]
	v_addc_co_u32_e64 v65, s[14:15], 0, v65, s[14:15]
	v_cmp_gt_i32_e64 s[14:15], s6, v45
	s_and_b64 s[12:13], s[12:13], s[14:15]
	v_addc_co_u32_e64 v66, s[12:13], 0, v66, s[12:13]
	s_or_b64 exec, exec, s[16:17]
	s_and_saveexec_b64 s[14:15], s[10:11]
	s_cbranch_execz .LBB53_46
.LBB53_62:                              ;   in Loop: Header=BB53_3 Depth=1
	s_waitcnt vmcnt(0)
	v_cmp_u_f64_e64 s[12:13], v[24:25], v[24:25]
	s_waitcnt lgkmcnt(0)
	v_cmp_eq_f64_e64 s[10:11], s[46:47], v[24:25]
	v_addc_co_u32_e64 v1, s[12:13], 0, v1, s[12:13]
	v_cmp_gt_f64_e64 s[12:13], s[46:47], v[24:25]
	v_addc_co_u32_e64 v65, s[12:13], 0, v65, s[12:13]
	v_cmp_gt_i32_e64 s[12:13], s6, v43
	s_and_b64 s[10:11], s[10:11], s[12:13]
	v_addc_co_u32_e64 v66, s[10:11], 0, v66, s[10:11]
	s_or_b64 exec, exec, s[14:15]
	s_and_saveexec_b64 s[12:13], s[8:9]
	s_cbranch_execz .LBB53_47
.LBB53_63:                              ;   in Loop: Header=BB53_3 Depth=1
	s_waitcnt vmcnt(0)
	v_cmp_u_f64_e64 s[10:11], v[26:27], v[26:27]
	s_waitcnt lgkmcnt(0)
	v_cmp_eq_f64_e64 s[8:9], s[46:47], v[26:27]
	v_addc_co_u32_e64 v1, s[10:11], 0, v1, s[10:11]
	v_cmp_gt_f64_e64 s[10:11], s[46:47], v[26:27]
	v_addc_co_u32_e64 v65, s[10:11], 0, v65, s[10:11]
	v_cmp_gt_i32_e64 s[10:11], s6, v41
	s_and_b64 s[8:9], s[8:9], s[10:11]
	v_addc_co_u32_e64 v66, s[8:9], 0, v66, s[8:9]
	s_or_b64 exec, exec, s[12:13]
	s_and_saveexec_b64 s[10:11], s[2:3]
	s_cbranch_execz .LBB53_48
.LBB53_64:                              ;   in Loop: Header=BB53_3 Depth=1
	s_waitcnt vmcnt(0)
	v_cmp_u_f64_e64 s[8:9], v[28:29], v[28:29]
	s_waitcnt lgkmcnt(0)
	v_cmp_eq_f64_e64 s[2:3], s[46:47], v[28:29]
	v_addc_co_u32_e64 v1, s[8:9], 0, v1, s[8:9]
	v_cmp_gt_f64_e64 s[8:9], s[46:47], v[28:29]
	v_addc_co_u32_e64 v65, s[8:9], 0, v65, s[8:9]
	v_cmp_gt_i32_e64 s[8:9], s6, v39
	s_and_b64 s[2:3], s[2:3], s[8:9]
	v_addc_co_u32_e64 v66, s[2:3], 0, v66, s[2:3]
	s_or_b64 exec, exec, s[10:11]
	s_and_saveexec_b64 s[8:9], s[0:1]
	s_cbranch_execz .LBB53_49
.LBB53_65:                              ;   in Loop: Header=BB53_3 Depth=1
	s_waitcnt vmcnt(0)
	v_cmp_u_f64_e64 s[2:3], v[30:31], v[30:31]
	s_waitcnt lgkmcnt(0)
	v_cmp_eq_f64_e64 s[0:1], s[46:47], v[30:31]
	v_addc_co_u32_e64 v1, s[2:3], 0, v1, s[2:3]
	v_cmp_gt_f64_e64 s[2:3], s[46:47], v[30:31]
	v_addc_co_u32_e64 v65, s[2:3], 0, v65, s[2:3]
	v_cmp_gt_i32_e64 s[2:3], s6, v37
	s_and_b64 s[0:1], s[0:1], s[2:3]
	v_addc_co_u32_e64 v66, s[0:1], 0, v66, s[0:1]
	s_or_b64 exec, exec, s[8:9]
	s_and_saveexec_b64 s[2:3], vcc
	s_cbranch_execz .LBB53_2
.LBB53_66:                              ;   in Loop: Header=BB53_3 Depth=1
	s_waitcnt vmcnt(0)
	v_cmp_u_f64_e64 s[0:1], v[32:33], v[32:33]
	s_waitcnt lgkmcnt(0)
	v_cmp_eq_f64_e32 vcc, s[46:47], v[32:33]
	v_addc_co_u32_e64 v1, s[0:1], 0, v1, s[0:1]
	v_cmp_gt_f64_e64 s[0:1], s[46:47], v[32:33]
	v_addc_co_u32_e64 v65, s[0:1], 0, v65, s[0:1]
	v_cmp_gt_i32_e64 s[0:1], s6, v35
	s_and_b64 vcc, vcc, s[0:1]
	v_addc_co_u32_e32 v66, vcc, 0, v66, vcc
	s_branch .LBB53_2
.LBB53_67:
	v_mov_b32_e32 v34, 0
	v_mov_b32_e32 v35, v34
	;; [unrolled: 1-line block ×64, first 2 shown]
	s_mov_b64 s[0:1], -1
	v_lshlrev_b32_e32 v1, 2, v0
	s_cmp_lt_u32 s52, 2
	ds_write_b32 v1, v34
	s_cbranch_scc0 .LBB53_69
	s_branch .LBB53_73
.LBB53_68:
	v_add_u32_e32 v34, v65, v66
	v_cmp_eq_u32_e64 s[0:1], 0, v1
	v_lshlrev_b32_e32 v1, 2, v0
	s_cmp_lt_u32 s52, 2
	ds_write_b32 v1, v34
	s_cbranch_scc1 .LBB53_73
.LBB53_69:
	s_mov_b32 s8, s52
	s_branch .LBB53_71
.LBB53_70:                              ;   in Loop: Header=BB53_71 Depth=1
	s_or_b64 exec, exec, s[2:3]
	s_cmp_lt_u32 s8, 4
	s_mov_b32 s8, s9
	s_cbranch_scc1 .LBB53_73
.LBB53_71:                              ; =>This Inner Loop Header: Depth=1
	s_lshr_b32 s9, s8, 1
	v_cmp_gt_u32_e32 vcc, s9, v0
	s_waitcnt vmcnt(0) lgkmcnt(0)
	s_barrier
	s_and_saveexec_b64 s[2:3], vcc
	s_cbranch_execz .LBB53_70
; %bb.72:                               ;   in Loop: Header=BB53_71 Depth=1
	v_lshl_add_u32 v35, s9, 2, v1
	ds_read_b32 v35, v35
	s_waitcnt lgkmcnt(0)
	v_add_u32_e32 v34, v35, v34
	ds_write_b32 v1, v34
	s_branch .LBB53_70
.LBB53_73:
	v_mov_b32_e32 v1, 0
	s_xor_b64 s[2:3], s[0:1], -1
	s_mul_i32 s0, s42, s66
	s_mul_hi_u32 s1, s42, s33
	s_waitcnt vmcnt(0) lgkmcnt(0)
	s_barrier
	ds_read_b32 v34, v1
	s_add_i32 s0, s1, s0
	s_mul_i32 s1, s43, s33
	s_add_i32 s1, s0, s1
	s_mul_i32 s0, s42, s33
	s_lshl_b64 s[0:1], s[0:1], 3
	s_add_u32 s10, s40, s0
	s_addc_u32 s11, s41, s1
	s_waitcnt lgkmcnt(0)
	v_readfirstlane_b32 s0, v34
	v_cmp_eq_u32_e32 vcc, 0, v0
	s_and_saveexec_b64 s[8:9], vcc
	s_cbranch_execnz .LBB53_76
; %bb.74:
	s_or_b64 exec, exec, s[8:9]
	s_and_saveexec_b64 s[8:9], s[2:3]
	s_cbranch_execnz .LBB53_77
.LBB53_75:
	s_or_b64 exec, exec, s[8:9]
	s_andn2_b64 vcc, exec, s[48:49]
	s_cbranch_vccz .LBB53_78
	s_branch .LBB53_144
.LBB53_76:
	s_ashr_i32 s1, s0, 31
	s_lshl_b64 s[12:13], s[0:1], 3
	s_add_u32 s12, s10, s12
	v_mov_b32_e32 v34, s46
	s_addc_u32 s13, s11, s13
	v_mov_b32_e32 v35, s47
	global_store_dwordx2 v1, v[34:35], s[12:13]
	s_or_b64 exec, exec, s[8:9]
	s_and_saveexec_b64 s[8:9], s[2:3]
	s_cbranch_execz .LBB53_75
.LBB53_77:
	s_add_u32 s2, s10, s44
	s_addc_u32 s3, s11, s45
	v_mov_b32_e32 v34, 0
	v_mov_b32_e32 v35, 0x7ff80000
	global_store_dwordx2 v34, v[34:35], s[2:3]
	s_or_b64 exec, exec, s[8:9]
	s_andn2_b64 vcc, exec, s[48:49]
	s_cbranch_vccnz .LBB53_144
.LBB53_78:
	s_load_dwordx2 s[2:3], s[4:5], 0x30
	s_load_dwordx8 s[8:15], s[4:5], 0x38
	s_waitcnt lgkmcnt(0)
	s_ashr_i32 s5, s2, 31
	s_mov_b32 s4, s2
	s_mul_i32 s1, s8, s66
	s_mul_hi_u32 s2, s8, s33
	s_add_i32 s1, s2, s1
	s_mul_i32 s2, s9, s33
	s_add_i32 s9, s1, s2
	s_mul_i32 s8, s8, s33
	s_lshl_b64 s[8:9], s[8:9], 3
	s_add_u32 s1, s38, s8
	s_addc_u32 s2, s39, s9
	s_lshl_b64 s[4:5], s[4:5], 3
	s_add_u32 s1, s1, s4
	s_addc_u32 s16, s2, s5
	s_mul_i32 s2, s14, s66
	s_mul_hi_u32 s8, s14, s33
	s_add_i32 s2, s8, s2
	s_mul_i32 s8, s15, s33
	s_add_i32 s9, s2, s8
	s_mul_i32 s8, s14, s33
	s_ashr_i32 s5, s12, 31
	s_lshl_b64 s[8:9], s[8:9], 3
	s_mov_b32 s4, s12
	s_add_u32 s2, s10, s8
	s_addc_u32 s8, s11, s9
	s_lshl_b64 s[4:5], s[4:5], 3
	s_add_u32 s4, s2, s4
	s_mul_i32 s2, s3, s6
	s_addc_u32 s5, s8, s5
	s_ashr_i32 s3, s2, 31
	s_lshl_b64 s[2:3], s[2:3], 3
	s_add_u32 s33, s1, s2
	s_mul_i32 s0, s0, s13
	s_addc_u32 s36, s16, s3
	s_ashr_i32 s1, s0, 31
	s_lshl_b64 s[0:1], s[0:1], 3
	s_add_u32 s37, s4, s0
	s_addc_u32 s38, s5, s1
	s_add_i32 s39, s7, 1
	s_lshl_b32 s40, s52, 1
	s_lshl_b32 s41, s52, 2
	s_lshl_b32 s42, s52, 3
	s_branch .LBB53_80
.LBB53_79:                              ;   in Loop: Header=BB53_80 Depth=1
	s_or_b64 exec, exec, s[0:1]
	s_add_i32 s39, s39, -1
	s_cmp_eq_u32 s39, 0
	v_add_u32_e32 v0, s53, v0
	s_cbranch_scc1 .LBB53_144
.LBB53_80:                              ; =>This Inner Loop Header: Depth=1
	v_cmp_gt_i32_e32 vcc, s54, v0
	v_ashrrev_i32_e32 v1, 31, v0
	s_and_saveexec_b64 s[2:3], vcc
	s_cbranch_execz .LBB53_82
; %bb.81:                               ;   in Loop: Header=BB53_80 Depth=1
	s_waitcnt vmcnt(0)
	v_lshlrev_b64 v[2:3], 3, v[0:1]
	v_mov_b32_e32 v34, s36
	v_add_co_u32_e64 v2, s[0:1], s33, v2
	v_addc_co_u32_e64 v3, s[0:1], v34, v3, s[0:1]
	global_load_dwordx2 v[2:3], v[2:3], off
.LBB53_82:                              ;   in Loop: Header=BB53_80 Depth=1
	s_or_b64 exec, exec, s[2:3]
	v_add_u32_e32 v34, s52, v0
	v_cmp_gt_i32_e64 s[0:1], s54, v34
	v_ashrrev_i32_e32 v35, 31, v34
	s_and_saveexec_b64 s[4:5], s[0:1]
	s_cbranch_execz .LBB53_84
; %bb.83:                               ;   in Loop: Header=BB53_80 Depth=1
	s_waitcnt vmcnt(0)
	v_lshlrev_b64 v[4:5], 3, v[34:35]
	v_mov_b32_e32 v36, s36
	v_add_co_u32_e64 v4, s[2:3], s33, v4
	v_addc_co_u32_e64 v5, s[2:3], v36, v5, s[2:3]
	global_load_dwordx2 v[4:5], v[4:5], off
.LBB53_84:                              ;   in Loop: Header=BB53_80 Depth=1
	s_or_b64 exec, exec, s[4:5]
	v_add_u32_e32 v36, s40, v0
	v_add_u32_e32 v39, s52, v34
	v_cmp_gt_i32_e64 s[2:3], s54, v39
	v_ashrrev_i32_e32 v37, 31, v36
	s_and_saveexec_b64 s[6:7], s[2:3]
	s_cbranch_execz .LBB53_86
; %bb.85:                               ;   in Loop: Header=BB53_80 Depth=1
	s_waitcnt vmcnt(0)
	v_lshlrev_b64 v[6:7], 3, v[36:37]
	v_mov_b32_e32 v38, s36
	v_add_co_u32_e64 v6, s[4:5], s33, v6
	v_addc_co_u32_e64 v7, s[4:5], v38, v7, s[4:5]
	global_load_dwordx2 v[6:7], v[6:7], off
.LBB53_86:                              ;   in Loop: Header=BB53_80 Depth=1
	s_or_b64 exec, exec, s[6:7]
	v_add_u32_e32 v38, s55, v0
	;; [unrolled: 15-line block ×8, first 2 shown]
	v_add_u32_e32 v53, s52, v51
	v_cmp_gt_i32_e64 s[16:17], s54, v53
	v_ashrrev_i32_e32 v51, 31, v50
	s_and_saveexec_b64 s[20:21], s[16:17]
	s_cbranch_execz .LBB53_100
; %bb.99:                               ;   in Loop: Header=BB53_80 Depth=1
	s_waitcnt vmcnt(0)
	v_lshlrev_b64 v[20:21], 3, v[50:51]
	v_mov_b32_e32 v52, s36
	v_add_co_u32_e64 v20, s[18:19], s33, v20
	v_addc_co_u32_e64 v21, s[18:19], v52, v21, s[18:19]
	global_load_dwordx2 v[20:21], v[20:21], off
.LBB53_100:                             ;   in Loop: Header=BB53_80 Depth=1
	s_or_b64 exec, exec, s[20:21]
	v_add_u32_e32 v52, s60, v0
	v_add_u32_e32 v55, s52, v53
	v_cmp_gt_i32_e64 s[18:19], s54, v55
	v_ashrrev_i32_e32 v53, 31, v52
	s_and_saveexec_b64 s[22:23], s[18:19]
	s_cbranch_execz .LBB53_102
; %bb.101:                              ;   in Loop: Header=BB53_80 Depth=1
	s_waitcnt vmcnt(0)
	v_lshlrev_b64 v[22:23], 3, v[52:53]
	v_mov_b32_e32 v54, s36
	v_add_co_u32_e64 v22, s[20:21], s33, v22
	v_addc_co_u32_e64 v23, s[20:21], v54, v23, s[20:21]
	global_load_dwordx2 v[22:23], v[22:23], off
.LBB53_102:                             ;   in Loop: Header=BB53_80 Depth=1
	s_or_b64 exec, exec, s[22:23]
	v_add_u32_e32 v54, s61, v0
	v_add_u32_e32 v57, s52, v55
	v_cmp_gt_i32_e64 s[20:21], s54, v57
	v_ashrrev_i32_e32 v55, 31, v54
	s_and_saveexec_b64 s[24:25], s[20:21]
	s_cbranch_execz .LBB53_104
; %bb.103:                              ;   in Loop: Header=BB53_80 Depth=1
	s_waitcnt vmcnt(0)
	v_lshlrev_b64 v[24:25], 3, v[54:55]
	v_mov_b32_e32 v56, s36
	v_add_co_u32_e64 v24, s[22:23], s33, v24
	v_addc_co_u32_e64 v25, s[22:23], v56, v25, s[22:23]
	global_load_dwordx2 v[24:25], v[24:25], off
.LBB53_104:                             ;   in Loop: Header=BB53_80 Depth=1
	;; [unrolled: 15-line block ×5, first 2 shown]
	s_or_b64 exec, exec, s[30:31]
	v_add_u32_e32 v62, s65, v0
	v_add_u32_e32 v63, s52, v63
	v_cmp_gt_i32_e64 s[28:29], s54, v63
	v_ashrrev_i32_e32 v63, 31, v62
	s_and_saveexec_b64 s[34:35], s[28:29]
	s_cbranch_execnz .LBB53_127
; %bb.111:                              ;   in Loop: Header=BB53_80 Depth=1
	s_or_b64 exec, exec, s[34:35]
	s_and_saveexec_b64 s[30:31], vcc
	s_cbranch_execnz .LBB53_128
.LBB53_112:                             ;   in Loop: Header=BB53_80 Depth=1
	s_or_b64 exec, exec, s[30:31]
	s_and_saveexec_b64 s[30:31], s[0:1]
	s_cbranch_execnz .LBB53_129
.LBB53_113:                             ;   in Loop: Header=BB53_80 Depth=1
	s_or_b64 exec, exec, s[30:31]
	s_and_saveexec_b64 s[0:1], s[2:3]
	s_cbranch_execnz .LBB53_130
.LBB53_114:                             ;   in Loop: Header=BB53_80 Depth=1
	s_or_b64 exec, exec, s[0:1]
	s_and_saveexec_b64 s[0:1], s[4:5]
	s_cbranch_execnz .LBB53_131
.LBB53_115:                             ;   in Loop: Header=BB53_80 Depth=1
	s_or_b64 exec, exec, s[0:1]
	s_and_saveexec_b64 s[0:1], s[6:7]
	s_cbranch_execnz .LBB53_132
.LBB53_116:                             ;   in Loop: Header=BB53_80 Depth=1
	s_or_b64 exec, exec, s[0:1]
	s_and_saveexec_b64 s[0:1], s[8:9]
	s_cbranch_execnz .LBB53_133
.LBB53_117:                             ;   in Loop: Header=BB53_80 Depth=1
	s_or_b64 exec, exec, s[0:1]
	s_and_saveexec_b64 s[0:1], s[10:11]
	s_cbranch_execnz .LBB53_134
.LBB53_118:                             ;   in Loop: Header=BB53_80 Depth=1
	s_or_b64 exec, exec, s[0:1]
	s_and_saveexec_b64 s[0:1], s[12:13]
	s_cbranch_execnz .LBB53_135
.LBB53_119:                             ;   in Loop: Header=BB53_80 Depth=1
	s_or_b64 exec, exec, s[0:1]
	s_and_saveexec_b64 s[0:1], s[14:15]
	s_cbranch_execnz .LBB53_136
.LBB53_120:                             ;   in Loop: Header=BB53_80 Depth=1
	s_or_b64 exec, exec, s[0:1]
	s_and_saveexec_b64 s[0:1], s[16:17]
	s_cbranch_execnz .LBB53_137
.LBB53_121:                             ;   in Loop: Header=BB53_80 Depth=1
	s_or_b64 exec, exec, s[0:1]
	s_and_saveexec_b64 s[0:1], s[18:19]
	s_cbranch_execnz .LBB53_138
.LBB53_122:                             ;   in Loop: Header=BB53_80 Depth=1
	s_or_b64 exec, exec, s[0:1]
	s_and_saveexec_b64 s[0:1], s[20:21]
	s_cbranch_execnz .LBB53_139
.LBB53_123:                             ;   in Loop: Header=BB53_80 Depth=1
	s_or_b64 exec, exec, s[0:1]
	s_and_saveexec_b64 s[0:1], s[22:23]
	s_cbranch_execnz .LBB53_140
.LBB53_124:                             ;   in Loop: Header=BB53_80 Depth=1
	s_or_b64 exec, exec, s[0:1]
	s_and_saveexec_b64 s[0:1], s[24:25]
	s_cbranch_execnz .LBB53_141
.LBB53_125:                             ;   in Loop: Header=BB53_80 Depth=1
	s_or_b64 exec, exec, s[0:1]
	s_and_saveexec_b64 s[0:1], s[26:27]
	s_cbranch_execnz .LBB53_142
.LBB53_126:                             ;   in Loop: Header=BB53_80 Depth=1
	s_or_b64 exec, exec, s[0:1]
	s_and_saveexec_b64 s[0:1], s[28:29]
	s_cbranch_execz .LBB53_79
	s_branch .LBB53_143
.LBB53_127:                             ;   in Loop: Header=BB53_80 Depth=1
	s_waitcnt vmcnt(0)
	v_lshlrev_b64 v[32:33], 3, v[62:63]
	v_mov_b32_e32 v64, s36
	v_add_co_u32_e64 v32, s[30:31], s33, v32
	v_addc_co_u32_e64 v33, s[30:31], v64, v33, s[30:31]
	global_load_dwordx2 v[32:33], v[32:33], off
	s_or_b64 exec, exec, s[34:35]
	s_and_saveexec_b64 s[30:31], vcc
	s_cbranch_execz .LBB53_112
.LBB53_128:                             ;   in Loop: Header=BB53_80 Depth=1
	v_lshlrev_b64 v[64:65], 3, v[0:1]
	v_mov_b32_e32 v1, s38
	v_add_co_u32_e32 v64, vcc, s37, v64
	v_addc_co_u32_e32 v65, vcc, v1, v65, vcc
	s_waitcnt vmcnt(0)
	global_store_dwordx2 v[64:65], v[2:3], off
	s_or_b64 exec, exec, s[30:31]
	s_and_saveexec_b64 s[30:31], s[0:1]
	s_cbranch_execz .LBB53_113
.LBB53_129:                             ;   in Loop: Header=BB53_80 Depth=1
	v_lshlrev_b64 v[34:35], 3, v[34:35]
	v_mov_b32_e32 v1, s38
	v_add_co_u32_e32 v34, vcc, s37, v34
	v_addc_co_u32_e32 v35, vcc, v1, v35, vcc
	s_waitcnt vmcnt(0)
	global_store_dwordx2 v[34:35], v[4:5], off
	s_or_b64 exec, exec, s[30:31]
	s_and_saveexec_b64 s[0:1], s[2:3]
	s_cbranch_execz .LBB53_114
.LBB53_130:                             ;   in Loop: Header=BB53_80 Depth=1
	v_lshlrev_b64 v[34:35], 3, v[36:37]
	v_mov_b32_e32 v1, s38
	v_add_co_u32_e32 v34, vcc, s37, v34
	v_addc_co_u32_e32 v35, vcc, v1, v35, vcc
	s_waitcnt vmcnt(0)
	global_store_dwordx2 v[34:35], v[6:7], off
	s_or_b64 exec, exec, s[0:1]
	s_and_saveexec_b64 s[0:1], s[4:5]
	s_cbranch_execz .LBB53_115
.LBB53_131:                             ;   in Loop: Header=BB53_80 Depth=1
	v_lshlrev_b64 v[34:35], 3, v[38:39]
	v_mov_b32_e32 v1, s38
	v_add_co_u32_e32 v34, vcc, s37, v34
	v_addc_co_u32_e32 v35, vcc, v1, v35, vcc
	s_waitcnt vmcnt(0)
	global_store_dwordx2 v[34:35], v[8:9], off
	s_or_b64 exec, exec, s[0:1]
	s_and_saveexec_b64 s[0:1], s[6:7]
	s_cbranch_execz .LBB53_116
.LBB53_132:                             ;   in Loop: Header=BB53_80 Depth=1
	v_lshlrev_b64 v[34:35], 3, v[40:41]
	v_mov_b32_e32 v1, s38
	v_add_co_u32_e32 v34, vcc, s37, v34
	v_addc_co_u32_e32 v35, vcc, v1, v35, vcc
	s_waitcnt vmcnt(0)
	global_store_dwordx2 v[34:35], v[10:11], off
	s_or_b64 exec, exec, s[0:1]
	s_and_saveexec_b64 s[0:1], s[8:9]
	s_cbranch_execz .LBB53_117
.LBB53_133:                             ;   in Loop: Header=BB53_80 Depth=1
	v_lshlrev_b64 v[34:35], 3, v[42:43]
	v_mov_b32_e32 v1, s38
	v_add_co_u32_e32 v34, vcc, s37, v34
	v_addc_co_u32_e32 v35, vcc, v1, v35, vcc
	s_waitcnt vmcnt(0)
	global_store_dwordx2 v[34:35], v[12:13], off
	s_or_b64 exec, exec, s[0:1]
	s_and_saveexec_b64 s[0:1], s[10:11]
	s_cbranch_execz .LBB53_118
.LBB53_134:                             ;   in Loop: Header=BB53_80 Depth=1
	v_lshlrev_b64 v[34:35], 3, v[44:45]
	v_mov_b32_e32 v1, s38
	v_add_co_u32_e32 v34, vcc, s37, v34
	v_addc_co_u32_e32 v35, vcc, v1, v35, vcc
	s_waitcnt vmcnt(0)
	global_store_dwordx2 v[34:35], v[14:15], off
	s_or_b64 exec, exec, s[0:1]
	s_and_saveexec_b64 s[0:1], s[12:13]
	s_cbranch_execz .LBB53_119
.LBB53_135:                             ;   in Loop: Header=BB53_80 Depth=1
	v_lshlrev_b64 v[34:35], 3, v[46:47]
	v_mov_b32_e32 v1, s38
	v_add_co_u32_e32 v34, vcc, s37, v34
	v_addc_co_u32_e32 v35, vcc, v1, v35, vcc
	s_waitcnt vmcnt(0)
	global_store_dwordx2 v[34:35], v[16:17], off
	s_or_b64 exec, exec, s[0:1]
	s_and_saveexec_b64 s[0:1], s[14:15]
	s_cbranch_execz .LBB53_120
.LBB53_136:                             ;   in Loop: Header=BB53_80 Depth=1
	v_lshlrev_b64 v[34:35], 3, v[48:49]
	v_mov_b32_e32 v1, s38
	v_add_co_u32_e32 v34, vcc, s37, v34
	v_addc_co_u32_e32 v35, vcc, v1, v35, vcc
	s_waitcnt vmcnt(0)
	global_store_dwordx2 v[34:35], v[18:19], off
	s_or_b64 exec, exec, s[0:1]
	s_and_saveexec_b64 s[0:1], s[16:17]
	s_cbranch_execz .LBB53_121
.LBB53_137:                             ;   in Loop: Header=BB53_80 Depth=1
	v_lshlrev_b64 v[34:35], 3, v[50:51]
	v_mov_b32_e32 v1, s38
	v_add_co_u32_e32 v34, vcc, s37, v34
	v_addc_co_u32_e32 v35, vcc, v1, v35, vcc
	s_waitcnt vmcnt(0)
	global_store_dwordx2 v[34:35], v[20:21], off
	s_or_b64 exec, exec, s[0:1]
	s_and_saveexec_b64 s[0:1], s[18:19]
	s_cbranch_execz .LBB53_122
.LBB53_138:                             ;   in Loop: Header=BB53_80 Depth=1
	v_lshlrev_b64 v[34:35], 3, v[52:53]
	v_mov_b32_e32 v1, s38
	v_add_co_u32_e32 v34, vcc, s37, v34
	v_addc_co_u32_e32 v35, vcc, v1, v35, vcc
	s_waitcnt vmcnt(0)
	global_store_dwordx2 v[34:35], v[22:23], off
	s_or_b64 exec, exec, s[0:1]
	s_and_saveexec_b64 s[0:1], s[20:21]
	s_cbranch_execz .LBB53_123
.LBB53_139:                             ;   in Loop: Header=BB53_80 Depth=1
	v_lshlrev_b64 v[34:35], 3, v[54:55]
	v_mov_b32_e32 v1, s38
	v_add_co_u32_e32 v34, vcc, s37, v34
	v_addc_co_u32_e32 v35, vcc, v1, v35, vcc
	s_waitcnt vmcnt(0)
	global_store_dwordx2 v[34:35], v[24:25], off
	s_or_b64 exec, exec, s[0:1]
	s_and_saveexec_b64 s[0:1], s[22:23]
	s_cbranch_execz .LBB53_124
.LBB53_140:                             ;   in Loop: Header=BB53_80 Depth=1
	v_lshlrev_b64 v[34:35], 3, v[56:57]
	v_mov_b32_e32 v1, s38
	v_add_co_u32_e32 v34, vcc, s37, v34
	v_addc_co_u32_e32 v35, vcc, v1, v35, vcc
	s_waitcnt vmcnt(0)
	global_store_dwordx2 v[34:35], v[26:27], off
	s_or_b64 exec, exec, s[0:1]
	s_and_saveexec_b64 s[0:1], s[24:25]
	s_cbranch_execz .LBB53_125
.LBB53_141:                             ;   in Loop: Header=BB53_80 Depth=1
	v_lshlrev_b64 v[34:35], 3, v[58:59]
	v_mov_b32_e32 v1, s38
	v_add_co_u32_e32 v34, vcc, s37, v34
	v_addc_co_u32_e32 v35, vcc, v1, v35, vcc
	s_waitcnt vmcnt(0)
	global_store_dwordx2 v[34:35], v[28:29], off
	s_or_b64 exec, exec, s[0:1]
	s_and_saveexec_b64 s[0:1], s[26:27]
	s_cbranch_execz .LBB53_126
.LBB53_142:                             ;   in Loop: Header=BB53_80 Depth=1
	v_lshlrev_b64 v[34:35], 3, v[60:61]
	v_mov_b32_e32 v1, s38
	v_add_co_u32_e32 v34, vcc, s37, v34
	v_addc_co_u32_e32 v35, vcc, v1, v35, vcc
	s_waitcnt vmcnt(0)
	global_store_dwordx2 v[34:35], v[30:31], off
	s_or_b64 exec, exec, s[0:1]
	s_and_saveexec_b64 s[0:1], s[28:29]
	s_cbranch_execz .LBB53_79
.LBB53_143:                             ;   in Loop: Header=BB53_80 Depth=1
	v_lshlrev_b64 v[34:35], 3, v[62:63]
	v_mov_b32_e32 v1, s38
	v_add_co_u32_e32 v34, vcc, s37, v34
	v_addc_co_u32_e32 v35, vcc, v1, v35, vcc
	s_waitcnt vmcnt(0)
	global_store_dwordx2 v[34:35], v[32:33], off
	s_branch .LBB53_79
.LBB53_144:
	s_endpgm
	.section	.rodata,"a",@progbits
	.p2align	6, 0x0
	.amdhsa_kernel _ZN9rocsolver6v33100L10stedc_sortIddPdS2_EEviPT0_lS4_lT1_iilT2_iil
		.amdhsa_group_segment_fixed_size 2048
		.amdhsa_private_segment_fixed_size 0
		.amdhsa_kernarg_size 344
		.amdhsa_user_sgpr_count 6
		.amdhsa_user_sgpr_private_segment_buffer 1
		.amdhsa_user_sgpr_dispatch_ptr 0
		.amdhsa_user_sgpr_queue_ptr 0
		.amdhsa_user_sgpr_kernarg_segment_ptr 1
		.amdhsa_user_sgpr_dispatch_id 0
		.amdhsa_user_sgpr_flat_scratch_init 0
		.amdhsa_user_sgpr_private_segment_size 0
		.amdhsa_uses_dynamic_stack 0
		.amdhsa_system_sgpr_private_segment_wavefront_offset 0
		.amdhsa_system_sgpr_workgroup_id_x 1
		.amdhsa_system_sgpr_workgroup_id_y 1
		.amdhsa_system_sgpr_workgroup_id_z 0
		.amdhsa_system_sgpr_workgroup_info 0
		.amdhsa_system_vgpr_workitem_id 0
		.amdhsa_next_free_vgpr 67
		.amdhsa_next_free_sgpr 73
		.amdhsa_reserve_vcc 1
		.amdhsa_reserve_flat_scratch 0
		.amdhsa_float_round_mode_32 0
		.amdhsa_float_round_mode_16_64 0
		.amdhsa_float_denorm_mode_32 3
		.amdhsa_float_denorm_mode_16_64 3
		.amdhsa_dx10_clamp 1
		.amdhsa_ieee_mode 1
		.amdhsa_fp16_overflow 0
		.amdhsa_exception_fp_ieee_invalid_op 0
		.amdhsa_exception_fp_denorm_src 0
		.amdhsa_exception_fp_ieee_div_zero 0
		.amdhsa_exception_fp_ieee_overflow 0
		.amdhsa_exception_fp_ieee_underflow 0
		.amdhsa_exception_fp_ieee_inexact 0
		.amdhsa_exception_int_div_zero 0
	.end_amdhsa_kernel
	.section	.text._ZN9rocsolver6v33100L10stedc_sortIddPdS2_EEviPT0_lS4_lT1_iilT2_iil,"axG",@progbits,_ZN9rocsolver6v33100L10stedc_sortIddPdS2_EEviPT0_lS4_lT1_iilT2_iil,comdat
.Lfunc_end53:
	.size	_ZN9rocsolver6v33100L10stedc_sortIddPdS2_EEviPT0_lS4_lT1_iilT2_iil, .Lfunc_end53-_ZN9rocsolver6v33100L10stedc_sortIddPdS2_EEviPT0_lS4_lT1_iilT2_iil
                                        ; -- End function
	.set _ZN9rocsolver6v33100L10stedc_sortIddPdS2_EEviPT0_lS4_lT1_iilT2_iil.num_vgpr, 67
	.set _ZN9rocsolver6v33100L10stedc_sortIddPdS2_EEviPT0_lS4_lT1_iilT2_iil.num_agpr, 0
	.set _ZN9rocsolver6v33100L10stedc_sortIddPdS2_EEviPT0_lS4_lT1_iilT2_iil.numbered_sgpr, 73
	.set _ZN9rocsolver6v33100L10stedc_sortIddPdS2_EEviPT0_lS4_lT1_iilT2_iil.num_named_barrier, 0
	.set _ZN9rocsolver6v33100L10stedc_sortIddPdS2_EEviPT0_lS4_lT1_iilT2_iil.private_seg_size, 0
	.set _ZN9rocsolver6v33100L10stedc_sortIddPdS2_EEviPT0_lS4_lT1_iilT2_iil.uses_vcc, 1
	.set _ZN9rocsolver6v33100L10stedc_sortIddPdS2_EEviPT0_lS4_lT1_iilT2_iil.uses_flat_scratch, 0
	.set _ZN9rocsolver6v33100L10stedc_sortIddPdS2_EEviPT0_lS4_lT1_iilT2_iil.has_dyn_sized_stack, 0
	.set _ZN9rocsolver6v33100L10stedc_sortIddPdS2_EEviPT0_lS4_lT1_iilT2_iil.has_recursion, 0
	.set _ZN9rocsolver6v33100L10stedc_sortIddPdS2_EEviPT0_lS4_lT1_iilT2_iil.has_indirect_call, 0
	.section	.AMDGPU.csdata,"",@progbits
; Kernel info:
; codeLenInByte = 5860
; TotalNumSgprs: 77
; NumVgprs: 67
; ScratchSize: 0
; MemoryBound: 0
; FloatMode: 240
; IeeeMode: 1
; LDSByteSize: 2048 bytes/workgroup (compile time only)
; SGPRBlocks: 9
; VGPRBlocks: 16
; NumSGPRsForWavesPerEU: 77
; NumVGPRsForWavesPerEU: 67
; Occupancy: 3
; WaveLimiterHint : 0
; COMPUTE_PGM_RSRC2:SCRATCH_EN: 0
; COMPUTE_PGM_RSRC2:USER_SGPR: 6
; COMPUTE_PGM_RSRC2:TRAP_HANDLER: 0
; COMPUTE_PGM_RSRC2:TGID_X_EN: 1
; COMPUTE_PGM_RSRC2:TGID_Y_EN: 1
; COMPUTE_PGM_RSRC2:TGID_Z_EN: 0
; COMPUTE_PGM_RSRC2:TIDIG_COMP_CNT: 0
	.section	.text._ZN9rocsolver6v33100L16reset_batch_infoI19rocblas_complex_numIfEiiPS3_EEvT2_lT0_T1_,"axG",@progbits,_ZN9rocsolver6v33100L16reset_batch_infoI19rocblas_complex_numIfEiiPS3_EEvT2_lT0_T1_,comdat
	.globl	_ZN9rocsolver6v33100L16reset_batch_infoI19rocblas_complex_numIfEiiPS3_EEvT2_lT0_T1_ ; -- Begin function _ZN9rocsolver6v33100L16reset_batch_infoI19rocblas_complex_numIfEiiPS3_EEvT2_lT0_T1_
	.p2align	8
	.type	_ZN9rocsolver6v33100L16reset_batch_infoI19rocblas_complex_numIfEiiPS3_EEvT2_lT0_T1_,@function
_ZN9rocsolver6v33100L16reset_batch_infoI19rocblas_complex_numIfEiiPS3_EEvT2_lT0_T1_: ; @_ZN9rocsolver6v33100L16reset_batch_infoI19rocblas_complex_numIfEiiPS3_EEvT2_lT0_T1_
; %bb.0:
	s_load_dword s2, s[4:5], 0x24
	s_load_dwordx2 s[0:1], s[4:5], 0x10
	s_waitcnt lgkmcnt(0)
	s_and_b32 s2, s2, 0xffff
	s_mul_i32 s6, s6, s2
	v_add_u32_e32 v0, s6, v0
	v_cmp_gt_i32_e32 vcc, s0, v0
	s_and_saveexec_b64 s[2:3], vcc
	s_cbranch_execz .LBB54_2
; %bb.1:
	s_load_dwordx4 s[8:11], s[4:5], 0x0
	s_ashr_i32 s0, s7, 31
	v_ashrrev_i32_e32 v1, 31, v0
	v_lshlrev_b64 v[0:1], 3, v[0:1]
	v_cvt_f32_i32_e32 v2, s1
	s_waitcnt lgkmcnt(0)
	s_mul_hi_u32 s3, s10, s7
	s_mul_i32 s0, s10, s0
	s_mul_i32 s4, s11, s7
	s_add_i32 s0, s3, s0
	s_mul_i32 s2, s10, s7
	s_add_i32 s3, s0, s4
	s_lshl_b64 s[2:3], s[2:3], 3
	s_add_u32 s0, s8, s2
	s_addc_u32 s2, s9, s3
	v_mov_b32_e32 v3, s2
	v_add_co_u32_e32 v0, vcc, s0, v0
	v_addc_co_u32_e32 v1, vcc, v3, v1, vcc
	v_mov_b32_e32 v3, 0
	global_store_dwordx2 v[0:1], v[2:3], off
.LBB54_2:
	s_endpgm
	.section	.rodata,"a",@progbits
	.p2align	6, 0x0
	.amdhsa_kernel _ZN9rocsolver6v33100L16reset_batch_infoI19rocblas_complex_numIfEiiPS3_EEvT2_lT0_T1_
		.amdhsa_group_segment_fixed_size 0
		.amdhsa_private_segment_fixed_size 0
		.amdhsa_kernarg_size 280
		.amdhsa_user_sgpr_count 6
		.amdhsa_user_sgpr_private_segment_buffer 1
		.amdhsa_user_sgpr_dispatch_ptr 0
		.amdhsa_user_sgpr_queue_ptr 0
		.amdhsa_user_sgpr_kernarg_segment_ptr 1
		.amdhsa_user_sgpr_dispatch_id 0
		.amdhsa_user_sgpr_flat_scratch_init 0
		.amdhsa_user_sgpr_private_segment_size 0
		.amdhsa_uses_dynamic_stack 0
		.amdhsa_system_sgpr_private_segment_wavefront_offset 0
		.amdhsa_system_sgpr_workgroup_id_x 1
		.amdhsa_system_sgpr_workgroup_id_y 1
		.amdhsa_system_sgpr_workgroup_id_z 0
		.amdhsa_system_sgpr_workgroup_info 0
		.amdhsa_system_vgpr_workitem_id 0
		.amdhsa_next_free_vgpr 4
		.amdhsa_next_free_sgpr 12
		.amdhsa_reserve_vcc 1
		.amdhsa_reserve_flat_scratch 0
		.amdhsa_float_round_mode_32 0
		.amdhsa_float_round_mode_16_64 0
		.amdhsa_float_denorm_mode_32 3
		.amdhsa_float_denorm_mode_16_64 3
		.amdhsa_dx10_clamp 1
		.amdhsa_ieee_mode 1
		.amdhsa_fp16_overflow 0
		.amdhsa_exception_fp_ieee_invalid_op 0
		.amdhsa_exception_fp_denorm_src 0
		.amdhsa_exception_fp_ieee_div_zero 0
		.amdhsa_exception_fp_ieee_overflow 0
		.amdhsa_exception_fp_ieee_underflow 0
		.amdhsa_exception_fp_ieee_inexact 0
		.amdhsa_exception_int_div_zero 0
	.end_amdhsa_kernel
	.section	.text._ZN9rocsolver6v33100L16reset_batch_infoI19rocblas_complex_numIfEiiPS3_EEvT2_lT0_T1_,"axG",@progbits,_ZN9rocsolver6v33100L16reset_batch_infoI19rocblas_complex_numIfEiiPS3_EEvT2_lT0_T1_,comdat
.Lfunc_end54:
	.size	_ZN9rocsolver6v33100L16reset_batch_infoI19rocblas_complex_numIfEiiPS3_EEvT2_lT0_T1_, .Lfunc_end54-_ZN9rocsolver6v33100L16reset_batch_infoI19rocblas_complex_numIfEiiPS3_EEvT2_lT0_T1_
                                        ; -- End function
	.set _ZN9rocsolver6v33100L16reset_batch_infoI19rocblas_complex_numIfEiiPS3_EEvT2_lT0_T1_.num_vgpr, 4
	.set _ZN9rocsolver6v33100L16reset_batch_infoI19rocblas_complex_numIfEiiPS3_EEvT2_lT0_T1_.num_agpr, 0
	.set _ZN9rocsolver6v33100L16reset_batch_infoI19rocblas_complex_numIfEiiPS3_EEvT2_lT0_T1_.numbered_sgpr, 12
	.set _ZN9rocsolver6v33100L16reset_batch_infoI19rocblas_complex_numIfEiiPS3_EEvT2_lT0_T1_.num_named_barrier, 0
	.set _ZN9rocsolver6v33100L16reset_batch_infoI19rocblas_complex_numIfEiiPS3_EEvT2_lT0_T1_.private_seg_size, 0
	.set _ZN9rocsolver6v33100L16reset_batch_infoI19rocblas_complex_numIfEiiPS3_EEvT2_lT0_T1_.uses_vcc, 1
	.set _ZN9rocsolver6v33100L16reset_batch_infoI19rocblas_complex_numIfEiiPS3_EEvT2_lT0_T1_.uses_flat_scratch, 0
	.set _ZN9rocsolver6v33100L16reset_batch_infoI19rocblas_complex_numIfEiiPS3_EEvT2_lT0_T1_.has_dyn_sized_stack, 0
	.set _ZN9rocsolver6v33100L16reset_batch_infoI19rocblas_complex_numIfEiiPS3_EEvT2_lT0_T1_.has_recursion, 0
	.set _ZN9rocsolver6v33100L16reset_batch_infoI19rocblas_complex_numIfEiiPS3_EEvT2_lT0_T1_.has_indirect_call, 0
	.section	.AMDGPU.csdata,"",@progbits
; Kernel info:
; codeLenInByte = 144
; TotalNumSgprs: 16
; NumVgprs: 4
; ScratchSize: 0
; MemoryBound: 0
; FloatMode: 240
; IeeeMode: 1
; LDSByteSize: 0 bytes/workgroup (compile time only)
; SGPRBlocks: 1
; VGPRBlocks: 0
; NumSGPRsForWavesPerEU: 16
; NumVGPRsForWavesPerEU: 4
; Occupancy: 10
; WaveLimiterHint : 0
; COMPUTE_PGM_RSRC2:SCRATCH_EN: 0
; COMPUTE_PGM_RSRC2:USER_SGPR: 6
; COMPUTE_PGM_RSRC2:TRAP_HANDLER: 0
; COMPUTE_PGM_RSRC2:TGID_X_EN: 1
; COMPUTE_PGM_RSRC2:TGID_Y_EN: 1
; COMPUTE_PGM_RSRC2:TGID_Z_EN: 0
; COMPUTE_PGM_RSRC2:TIDIG_COMP_CNT: 0
	.section	.text._ZN9rocsolver6v33100L10init_identI19rocblas_complex_numIfEPS3_EEviiT0_iil,"axG",@progbits,_ZN9rocsolver6v33100L10init_identI19rocblas_complex_numIfEPS3_EEviiT0_iil,comdat
	.globl	_ZN9rocsolver6v33100L10init_identI19rocblas_complex_numIfEPS3_EEviiT0_iil ; -- Begin function _ZN9rocsolver6v33100L10init_identI19rocblas_complex_numIfEPS3_EEviiT0_iil
	.p2align	8
	.type	_ZN9rocsolver6v33100L10init_identI19rocblas_complex_numIfEPS3_EEviiT0_iil,@function
_ZN9rocsolver6v33100L10init_identI19rocblas_complex_numIfEPS3_EEviiT0_iil: ; @_ZN9rocsolver6v33100L10init_identI19rocblas_complex_numIfEPS3_EEviiT0_iil
; %bb.0:
	s_load_dword s2, s[4:5], 0x2c
	s_load_dwordx2 s[0:1], s[4:5], 0x0
	s_waitcnt lgkmcnt(0)
	s_lshr_b32 s3, s2, 16
	s_and_b32 s2, s2, 0xffff
	s_mul_i32 s6, s6, s2
	s_mul_i32 s7, s7, s3
	v_add_u32_e32 v3, s6, v0
	v_add_u32_e32 v1, s7, v1
	v_cmp_gt_u32_e32 vcc, s0, v3
	v_cmp_gt_u32_e64 s[0:1], s1, v1
	s_and_b64 s[0:1], vcc, s[0:1]
	s_and_saveexec_b64 s[2:3], s[0:1]
	s_cbranch_execz .LBB55_6
; %bb.1:
	s_load_dwordx2 s[0:1], s[4:5], 0x10
	v_cmp_ne_u32_e32 vcc, v3, v1
                                        ; implicit-def: $vgpr0
	s_and_saveexec_b64 s[2:3], vcc
	s_xor_b64 s[2:3], exec, s[2:3]
	s_cbranch_execz .LBB55_3
; %bb.2:
	s_waitcnt lgkmcnt(0)
	v_mad_u64_u32 v[0:1], s[6:7], v1, s1, v[3:4]
                                        ; implicit-def: $vgpr3
.LBB55_3:
	s_or_saveexec_b64 s[2:3], s[2:3]
	v_mov_b32_e32 v1, 0
	v_mov_b32_e32 v2, 0
	s_xor_b64 exec, exec, s[2:3]
	s_cbranch_execz .LBB55_5
; %bb.4:
	s_waitcnt lgkmcnt(0)
	v_mad_u64_u32 v[3:4], s[6:7], v3, s1, v[3:4]
	v_mov_b32_e32 v2, 1.0
	v_mov_b32_e32 v0, v3
.LBB55_5:
	s_or_b64 exec, exec, s[2:3]
	s_load_dwordx2 s[2:3], s[4:5], 0x18
	s_load_dwordx2 s[6:7], s[4:5], 0x8
	s_waitcnt lgkmcnt(0)
	s_ashr_i32 s1, s0, 31
	v_lshlrev_b64 v[3:4], 3, v[0:1]
	s_mul_i32 s3, s3, s8
	s_mul_hi_u32 s4, s2, s8
	s_mul_i32 s2, s2, s8
	s_add_i32 s3, s4, s3
	s_lshl_b64 s[2:3], s[2:3], 3
	s_add_u32 s2, s6, s2
	s_addc_u32 s3, s7, s3
	s_lshl_b64 s[0:1], s[0:1], 3
	s_add_u32 s0, s2, s0
	s_addc_u32 s1, s3, s1
	v_mov_b32_e32 v0, s1
	v_add_co_u32_e32 v5, vcc, s0, v3
	v_addc_co_u32_e32 v6, vcc, v0, v4, vcc
	v_mov_b32_e32 v3, v1
	global_store_dwordx2 v[5:6], v[2:3], off
.LBB55_6:
	s_endpgm
	.section	.rodata,"a",@progbits
	.p2align	6, 0x0
	.amdhsa_kernel _ZN9rocsolver6v33100L10init_identI19rocblas_complex_numIfEPS3_EEviiT0_iil
		.amdhsa_group_segment_fixed_size 0
		.amdhsa_private_segment_fixed_size 0
		.amdhsa_kernarg_size 288
		.amdhsa_user_sgpr_count 6
		.amdhsa_user_sgpr_private_segment_buffer 1
		.amdhsa_user_sgpr_dispatch_ptr 0
		.amdhsa_user_sgpr_queue_ptr 0
		.amdhsa_user_sgpr_kernarg_segment_ptr 1
		.amdhsa_user_sgpr_dispatch_id 0
		.amdhsa_user_sgpr_flat_scratch_init 0
		.amdhsa_user_sgpr_private_segment_size 0
		.amdhsa_uses_dynamic_stack 0
		.amdhsa_system_sgpr_private_segment_wavefront_offset 0
		.amdhsa_system_sgpr_workgroup_id_x 1
		.amdhsa_system_sgpr_workgroup_id_y 1
		.amdhsa_system_sgpr_workgroup_id_z 1
		.amdhsa_system_sgpr_workgroup_info 0
		.amdhsa_system_vgpr_workitem_id 1
		.amdhsa_next_free_vgpr 7
		.amdhsa_next_free_sgpr 9
		.amdhsa_reserve_vcc 1
		.amdhsa_reserve_flat_scratch 0
		.amdhsa_float_round_mode_32 0
		.amdhsa_float_round_mode_16_64 0
		.amdhsa_float_denorm_mode_32 3
		.amdhsa_float_denorm_mode_16_64 3
		.amdhsa_dx10_clamp 1
		.amdhsa_ieee_mode 1
		.amdhsa_fp16_overflow 0
		.amdhsa_exception_fp_ieee_invalid_op 0
		.amdhsa_exception_fp_denorm_src 0
		.amdhsa_exception_fp_ieee_div_zero 0
		.amdhsa_exception_fp_ieee_overflow 0
		.amdhsa_exception_fp_ieee_underflow 0
		.amdhsa_exception_fp_ieee_inexact 0
		.amdhsa_exception_int_div_zero 0
	.end_amdhsa_kernel
	.section	.text._ZN9rocsolver6v33100L10init_identI19rocblas_complex_numIfEPS3_EEviiT0_iil,"axG",@progbits,_ZN9rocsolver6v33100L10init_identI19rocblas_complex_numIfEPS3_EEviiT0_iil,comdat
.Lfunc_end55:
	.size	_ZN9rocsolver6v33100L10init_identI19rocblas_complex_numIfEPS3_EEviiT0_iil, .Lfunc_end55-_ZN9rocsolver6v33100L10init_identI19rocblas_complex_numIfEPS3_EEviiT0_iil
                                        ; -- End function
	.set _ZN9rocsolver6v33100L10init_identI19rocblas_complex_numIfEPS3_EEviiT0_iil.num_vgpr, 7
	.set _ZN9rocsolver6v33100L10init_identI19rocblas_complex_numIfEPS3_EEviiT0_iil.num_agpr, 0
	.set _ZN9rocsolver6v33100L10init_identI19rocblas_complex_numIfEPS3_EEviiT0_iil.numbered_sgpr, 9
	.set _ZN9rocsolver6v33100L10init_identI19rocblas_complex_numIfEPS3_EEviiT0_iil.num_named_barrier, 0
	.set _ZN9rocsolver6v33100L10init_identI19rocblas_complex_numIfEPS3_EEviiT0_iil.private_seg_size, 0
	.set _ZN9rocsolver6v33100L10init_identI19rocblas_complex_numIfEPS3_EEviiT0_iil.uses_vcc, 1
	.set _ZN9rocsolver6v33100L10init_identI19rocblas_complex_numIfEPS3_EEviiT0_iil.uses_flat_scratch, 0
	.set _ZN9rocsolver6v33100L10init_identI19rocblas_complex_numIfEPS3_EEviiT0_iil.has_dyn_sized_stack, 0
	.set _ZN9rocsolver6v33100L10init_identI19rocblas_complex_numIfEPS3_EEviiT0_iil.has_recursion, 0
	.set _ZN9rocsolver6v33100L10init_identI19rocblas_complex_numIfEPS3_EEviiT0_iil.has_indirect_call, 0
	.section	.AMDGPU.csdata,"",@progbits
; Kernel info:
; codeLenInByte = 252
; TotalNumSgprs: 13
; NumVgprs: 7
; ScratchSize: 0
; MemoryBound: 0
; FloatMode: 240
; IeeeMode: 1
; LDSByteSize: 0 bytes/workgroup (compile time only)
; SGPRBlocks: 1
; VGPRBlocks: 1
; NumSGPRsForWavesPerEU: 13
; NumVGPRsForWavesPerEU: 7
; Occupancy: 10
; WaveLimiterHint : 0
; COMPUTE_PGM_RSRC2:SCRATCH_EN: 0
; COMPUTE_PGM_RSRC2:USER_SGPR: 6
; COMPUTE_PGM_RSRC2:TRAP_HANDLER: 0
; COMPUTE_PGM_RSRC2:TGID_X_EN: 1
; COMPUTE_PGM_RSRC2:TGID_Y_EN: 1
; COMPUTE_PGM_RSRC2:TGID_Z_EN: 1
; COMPUTE_PGM_RSRC2:TIDIG_COMP_CNT: 1
	.section	.text._ZN9rocsolver6v33100L11lasr_kernelI19rocblas_complex_numIfEfPS3_iEEv13rocblas_side_14rocblas_pivot_15rocblas_direct_T2_S8_PT0_lSA_lT1_lS8_lS8_,"axG",@progbits,_ZN9rocsolver6v33100L11lasr_kernelI19rocblas_complex_numIfEfPS3_iEEv13rocblas_side_14rocblas_pivot_15rocblas_direct_T2_S8_PT0_lSA_lT1_lS8_lS8_,comdat
	.globl	_ZN9rocsolver6v33100L11lasr_kernelI19rocblas_complex_numIfEfPS3_iEEv13rocblas_side_14rocblas_pivot_15rocblas_direct_T2_S8_PT0_lSA_lT1_lS8_lS8_ ; -- Begin function _ZN9rocsolver6v33100L11lasr_kernelI19rocblas_complex_numIfEfPS3_iEEv13rocblas_side_14rocblas_pivot_15rocblas_direct_T2_S8_PT0_lSA_lT1_lS8_lS8_
	.p2align	8
	.type	_ZN9rocsolver6v33100L11lasr_kernelI19rocblas_complex_numIfEfPS3_iEEv13rocblas_side_14rocblas_pivot_15rocblas_direct_T2_S8_PT0_lSA_lT1_lS8_lS8_,@function
_ZN9rocsolver6v33100L11lasr_kernelI19rocblas_complex_numIfEfPS3_iEEv13rocblas_side_14rocblas_pivot_15rocblas_direct_T2_S8_PT0_lSA_lT1_lS8_lS8_: ; @_ZN9rocsolver6v33100L11lasr_kernelI19rocblas_complex_numIfEfPS3_iEEv13rocblas_side_14rocblas_pivot_15rocblas_direct_T2_S8_PT0_lSA_lT1_lS8_lS8_
; %bb.0:
	s_load_dword s33, s[4:5], 0x58
	s_waitcnt lgkmcnt(0)
	s_cmp_ge_u32 s7, s33
	s_cbranch_scc1 .LBB56_108
; %bb.1:
	s_load_dword s24, s[4:5], 0x48
	s_load_dwordx2 s[26:27], s[4:5], 0x68
	s_load_dwordx4 s[20:23], s[4:5], 0x38
	s_load_dwordx4 s[16:19], s[4:5], 0x0
	s_load_dword s90, s[4:5], 0x10
	s_waitcnt lgkmcnt(0)
	s_ashr_i32 s25, s24, 31
	s_and_b32 s45, s27, 0xffff
	s_mul_i32 s6, s6, s45
	s_lshl_b64 s[2:3], s[22:23], 3
	v_add_u32_e32 v0, s6, v0
	s_add_u32 s6, s20, s2
	s_addc_u32 s27, s21, s3
	s_cmpk_eq_i32 s16, 0x8d
	s_cselect_b64 s[0:1], -1, 0
	s_cmpk_eq_i32 s16, 0x8e
	s_cselect_b64 s[8:9], -1, 0
	;; [unrolled: 2-line block ×7, first 2 shown]
	s_and_b64 s[22:23], s[0:1], s[10:11]
	s_and_b64 s[30:31], s[0:1], s[14:15]
	;; [unrolled: 1-line block ×5, first 2 shown]
	s_xor_b64 s[36:37], s[0:1], -1
	s_and_b64 s[0:1], s[8:9], s[10:11]
	s_and_b64 s[10:11], s[0:1], s[40:41]
	;; [unrolled: 1-line block ×3, first 2 shown]
	s_xor_b64 s[0:1], s[0:1], -1
                                        ; implicit-def: $vgpr46 : SGPR spill to VGPR lane
	s_xor_b64 s[38:39], s[10:11], -1
	v_writelane_b32 v46, s0, 0
	v_writelane_b32 v46, s1, 1
	s_and_b64 s[0:1], s[8:9], s[14:15]
	s_and_b64 s[10:11], s[0:1], s[40:41]
	s_xor_b64 s[10:11], s[10:11], -1
	v_writelane_b32 v46, s10, 2
	s_and_b64 s[0:1], s[0:1], s[42:43]
	v_writelane_b32 v46, s11, 3
	s_xor_b64 s[0:1], s[0:1], -1
	v_writelane_b32 v46, s0, 4
	s_and_b64 s[8:9], s[8:9], s[12:13]
	v_writelane_b32 v46, s1, 5
	s_and_b64 s[0:1], s[8:9], s[40:41]
	s_xor_b64 s[0:1], s[0:1], -1
	v_writelane_b32 v46, s0, 6
	v_writelane_b32 v46, s1, 7
	v_cmp_gt_i32_e64 s[0:1], s19, v0
	s_and_b64 s[10:11], s[42:43], s[0:1]
	s_and_b64 s[8:9], s[8:9], s[10:11]
	;; [unrolled: 1-line block ×6, first 2 shown]
	v_writelane_b32 v46, s8, 8
	s_xor_b64 s[16:17], s[16:17], -1
	s_xor_b64 s[22:23], s[22:23], -1
	;; [unrolled: 1-line block ×5, first 2 shown]
	v_writelane_b32 v46, s9, 9
	s_add_i32 s91, s90, -1
	s_add_i32 s50, s90, -2
	s_load_dwordx8 s[8:15], s[4:5], 0x18
	s_cmp_gt_i32 s90, 1
	s_cselect_b64 s[52:53], -1, 0
	s_ashr_i32 s55, s19, 31
	s_add_i32 s40, s19, -2
	s_cmp_gt_i32 s19, 1
	s_mov_b32 s51, 0
	s_cselect_b64 s[56:57], -1, 0
	s_lshl_b64 s[42:43], s[50:51], 2
	s_waitcnt lgkmcnt(0)
	s_add_u32 s18, s8, s42
	s_addc_u32 s92, s9, s43
	s_lshl_b64 s[10:11], s[10:11], 2
	s_load_dword s44, s[4:5], 0x60
	v_writelane_b32 v46, s18, 10
	s_add_u32 s93, s12, s42
	s_mul_i32 s18, s25, s50
	s_mul_hi_u32 s41, s24, s50
	s_addc_u32 s94, s13, s43
	s_add_i32 s43, s41, s18
	s_mul_i32 s42, s24, s50
	s_lshl_b64 s[42:43], s[42:43], 3
	s_lshl_b64 s[14:15], s[14:15], 2
	s_load_dwordx2 s[4:5], s[4:5], 0x50
	s_add_u32 s18, s42, s2
	s_addc_u32 s41, s43, s3
	v_ashrrev_i32_e32 v1, 31, v0
	s_add_u32 s18, s20, s18
	v_lshlrev_b64 v[1:2], 3, v[0:1]
	s_waitcnt lgkmcnt(0)
	s_mul_i32 s58, s44, s45
	s_addc_u32 s41, s21, s41
	s_ashr_i32 s59, s58, 31
	v_mov_b32_e32 v3, s41
	v_add_co_u32_e32 v14, vcc, s18, v1
	s_lshl_b64 s[60:61], s[4:5], 3
	s_lshl_b64 s[62:63], s[58:59], 3
	;; [unrolled: 1-line block ×3, first 2 shown]
	v_addc_co_u32_e32 v15, vcc, v3, v2, vcc
	s_sub_u32 s59, 0, s64
	s_mul_i32 s18, s25, s91
	s_mul_hi_u32 s25, s24, s91
	s_mul_i32 s66, s24, s91
	v_add_co_u32_e32 v16, vcc, 4, v14
	s_subb_u32 s95, 0, s65
	s_add_i32 s43, s25, s18
	s_mov_b32 s42, s66
	v_addc_co_u32_e32 v17, vcc, 0, v15, vcc
	s_lshl_b64 s[42:43], s[42:43], 3
	s_add_i32 s25, s90, 1
	v_mov_b32_e32 v3, s27
	v_add_co_u32_e32 v4, vcc, s6, v1
	s_add_u32 s18, s42, s2
	v_addc_co_u32_e32 v3, vcc, v3, v2, vcc
	s_addc_u32 s41, s43, s3
	v_add_co_u32_e32 v18, vcc, 4, v4
	s_add_u32 s18, s20, s18
	v_addc_co_u32_e32 v19, vcc, 0, v3, vcc
	s_addc_u32 s41, s21, s41
	v_mov_b32_e32 v3, s41
	v_add_co_u32_e32 v4, vcc, s18, v1
	s_add_u32 s18, s2, s64
	v_addc_co_u32_e32 v3, vcc, v3, v2, vcc
	s_addc_u32 s41, s3, s65
	v_add_co_u32_e32 v20, vcc, 4, v4
	s_add_u32 s18, s20, s18
	v_addc_co_u32_e32 v21, vcc, 0, v3, vcc
	s_addc_u32 s41, s21, s41
	v_mov_b32_e32 v3, s41
	v_add_co_u32_e32 v4, vcc, s18, v1
	v_addc_co_u32_e32 v3, vcc, v3, v2, vcc
	v_mad_i64_i32 v[1:2], s[42:43], s24, v0, 0
	v_add_co_u32_e32 v22, vcc, 4, v4
	v_lshlrev_b64 v[1:2], 3, v[1:2]
	v_addc_co_u32_e32 v23, vcc, 0, v3, vcc
	s_mov_b32 s41, s51
	v_mov_b32_e32 v3, s3
	v_add_co_u32_e32 v1, vcc, s2, v1
	s_add_i32 s50, s19, -1
	s_lshl_b64 s[2:3], s[40:41], 2
	s_add_u32 s48, s8, s2
	s_addc_u32 s49, s9, s3
	s_add_u32 s46, s12, s2
	s_addc_u32 s47, s13, s3
	s_lshl_b64 s[2:3], s[40:41], 3
	s_add_u32 s2, s20, s2
	v_addc_co_u32_e32 v2, vcc, v2, v3, vcc
	s_addc_u32 s3, s21, s3
	v_mov_b32_e32 v3, s3
	v_add_co_u32_e32 v24, vcc, s2, v1
	v_addc_co_u32_e32 v25, vcc, v3, v2, vcc
	v_add_co_u32_e32 v26, vcc, 4, v24
	v_addc_co_u32_e32 v27, vcc, 0, v25, vcc
	s_mul_hi_i32 s3, s24, s58
	s_mul_i32 s2, s24, s58
	v_mov_b32_e32 v3, s21
	v_add_co_u32_e32 v4, vcc, s20, v1
	s_lshl_b64 s[68:69], s[2:3], 3
	s_add_i32 s44, s19, 1
	s_lshl_b64 s[2:3], s[50:51], 3
	v_addc_co_u32_e32 v3, vcc, v3, v2, vcc
	s_add_u32 s2, s20, s2
	v_add_co_u32_e32 v28, vcc, 4, v4
	s_addc_u32 s3, s21, s3
	v_addc_co_u32_e32 v29, vcc, 0, v3, vcc
	v_mov_b32_e32 v5, s3
	v_add_co_u32_e32 v1, vcc, s2, v1
	v_addc_co_u32_e32 v2, vcc, v5, v2, vcc
	v_add_co_u32_e32 v30, vcc, 4, v1
	v_addc_co_u32_e32 v31, vcc, 0, v2, vcc
	;; [unrolled: 2-line block ×4, first 2 shown]
	s_mul_hi_i32 s67, s24, s91
	s_mov_b32 s54, s19
	v_mov_b32_e32 v36, 0
	v_cmp_gt_i32_e64 s[2:3], s90, v0
	s_branch .LBB56_4
.LBB56_2:                               ;   in Loop: Header=BB56_4 Depth=1
	s_or_b64 exec, exec, s[72:73]
.LBB56_3:                               ;   in Loop: Header=BB56_4 Depth=1
	s_add_i32 s7, s7, s26
	s_cmp_ge_u32 s7, s33
	s_cbranch_scc1 .LBB56_108
.LBB56_4:                               ; =>This Loop Header: Depth=1
                                        ;     Child Loop BB56_19 Depth 2
                                        ;       Child Loop BB56_20 Depth 3
                                        ;     Child Loop BB56_26 Depth 2
                                        ;       Child Loop BB56_27 Depth 3
	;; [unrolled: 2-line block ×12, first 2 shown]
	s_mul_i32 s18, s15, s7
	s_mul_hi_u32 s20, s14, s7
	s_add_i32 s40, s20, s18
	s_mul_i32 s41, s14, s7
	s_add_u32 s20, s12, s41
	s_mul_i32 s18, s11, s7
	s_mul_hi_u32 s42, s10, s7
	s_addc_u32 s21, s13, s40
	s_add_i32 s78, s42, s18
	s_mul_i32 s79, s10, s7
	s_add_u32 s70, s8, s79
	s_mul_i32 s18, s61, s7
	s_mul_hi_u32 s42, s60, s7
	s_addc_u32 s71, s9, s78
	s_add_i32 s42, s42, s18
	s_mul_i32 s18, s5, s7
	s_mul_hi_u32 s45, s4, s7
	s_add_i32 s73, s45, s18
	s_mul_i32 s72, s4, s7
	s_lshl_b64 s[72:73], s[72:73], 3
	s_add_u32 s45, s6, s72
	s_mul_i32 s43, s60, s7
	s_addc_u32 s51, s27, s73
	s_and_b64 vcc, exec, s[16:17]
	s_mov_b64 s[72:73], -1
	s_cbranch_vccnz .LBB56_6
; %bb.5:                                ;   in Loop: Header=BB56_4 Depth=1
	s_andn2_b64 vcc, exec, s[72:73]
	s_cbranch_vccnz .LBB56_3
	s_branch .LBB56_103
.LBB56_6:                               ;   in Loop: Header=BB56_4 Depth=1
	s_add_u32 s72, s48, s79
	s_addc_u32 s73, s49, s78
	s_add_u32 s74, s46, s41
	s_addc_u32 s75, s47, s40
	s_mov_b64 s[76:77], -1
	s_and_b64 vcc, exec, s[22:23]
	s_cbranch_vccz .LBB56_95
; %bb.7:                                ;   in Loop: Header=BB56_4 Depth=1
	s_and_b64 vcc, exec, s[28:29]
	s_cbranch_vccz .LBB56_87
; %bb.8:                                ;   in Loop: Header=BB56_4 Depth=1
	;; [unrolled: 3-line block ×3, first 2 shown]
	s_and_b64 vcc, exec, s[34:35]
	s_cbranch_vccz .LBB56_71
; %bb.10:                               ;   in Loop: Header=BB56_4 Depth=1
	s_and_b64 vcc, exec, s[36:37]
	s_cbranch_vccz .LBB56_63
; %bb.11:                               ;   in Loop: Header=BB56_4 Depth=1
	v_mov_b32_e32 v2, s42
	v_add_co_u32_e32 v1, vcc, s43, v18
	v_addc_co_u32_e32 v2, vcc, v19, v2, vcc
	s_and_b64 vcc, exec, s[38:39]
	s_cbranch_vccz .LBB56_55
; %bb.12:                               ;   in Loop: Header=BB56_4 Depth=1
	v_readlane_b32 s18, v46, 10
	s_add_u32 s76, s18, s79
	s_addc_u32 s77, s92, s78
	s_add_u32 s78, s93, s41
	v_mov_b32_e32 v4, s42
	v_add_co_u32_e32 v3, vcc, s43, v20
	s_addc_u32 s79, s94, s40
	v_readlane_b32 s40, v46, 0
	v_addc_co_u32_e32 v4, vcc, v21, v4, vcc
	v_readlane_b32 s41, v46, 1
	s_mov_b64 s[80:81], -1
	s_and_b64 vcc, exec, s[40:41]
	s_cbranch_vccz .LBB56_46
; %bb.13:                               ;   in Loop: Header=BB56_4 Depth=1
	v_readlane_b32 s40, v46, 2
	v_readlane_b32 s41, v46, 3
	s_and_b64 vcc, exec, s[40:41]
	s_cbranch_vccz .LBB56_38
; %bb.14:                               ;   in Loop: Header=BB56_4 Depth=1
	v_readlane_b32 s40, v46, 4
	v_readlane_b32 s41, v46, 5
	;; [unrolled: 5-line block ×3, first 2 shown]
	s_and_b64 vcc, exec, s[40:41]
	s_cbranch_vccz .LBB56_22
; %bb.16:                               ;   in Loop: Header=BB56_4 Depth=1
	s_mov_b64 s[80:81], exec
	v_readlane_b32 s40, v46, 8
	v_readlane_b32 s41, v46, 9
	s_and_b64 s[40:41], s[80:81], s[40:41]
	s_mov_b64 exec, s[40:41]
	s_cbranch_execz .LBB56_21
; %bb.17:                               ;   in Loop: Header=BB56_4 Depth=1
	s_lshl_b64 s[40:41], s[66:67], 3
	v_mov_b32_e32 v6, s42
	v_add_co_u32_e32 v5, vcc, s43, v16
	s_add_u32 s40, s45, s40
	v_addc_co_u32_e32 v6, vcc, v17, v6, vcc
	s_addc_u32 s41, s51, s41
	s_mov_b64 s[82:83], 0
	v_mov_b32_e32 v7, v0
	s_branch .LBB56_19
.LBB56_18:                              ;   in Loop: Header=BB56_19 Depth=2
	v_add_u32_e32 v7, s58, v7
	v_cmp_le_i32_e32 vcc, s19, v7
	s_waitcnt vmcnt(0)
	global_store_dwordx2 v[8:9], v[10:11], off
	v_mov_b32_e32 v8, s63
	s_or_b64 s[82:83], vcc, s[82:83]
	v_add_co_u32_e32 v5, vcc, s62, v5
	v_addc_co_u32_e32 v6, vcc, v6, v8, vcc
	s_andn2_b64 exec, exec, s[82:83]
	s_cbranch_execz .LBB56_21
.LBB56_19:                              ;   Parent Loop BB56_4 Depth=1
                                        ; =>  This Loop Header: Depth=2
                                        ;       Child Loop BB56_20 Depth 3
	v_ashrrev_i32_e32 v8, 31, v7
	v_lshlrev_b64 v[8:9], 3, v[7:8]
	v_mov_b32_e32 v10, s41
	v_add_co_u32_e32 v8, vcc, s40, v8
	v_addc_co_u32_e32 v9, vcc, v10, v9, vcc
	global_load_dwordx2 v[10:11], v[8:9], off
	v_mov_b32_e32 v13, v6
	s_andn2_b64 vcc, exec, s[52:53]
	v_mov_b32_e32 v12, v5
	s_mov_b64 s[84:85], s[78:79]
	s_mov_b64 s[86:87], s[76:77]
	s_mov_b32 s18, s91
	s_cbranch_vccnz .LBB56_18
.LBB56_20:                              ;   Parent Loop BB56_4 Depth=1
                                        ;     Parent Loop BB56_19 Depth=2
                                        ; =>    This Inner Loop Header: Depth=3
	global_load_dwordx2 v[37:38], v[12:13], off offset:-4
	global_load_dword v41, v36, s[86:87]
	global_load_dword v42, v36, s[84:85]
	s_add_i32 s18, s18, -1
	s_add_u32 s86, s86, -4
	s_addc_u32 s87, s87, -1
	s_add_u32 s84, s84, -4
	v_mov_b32_e32 v43, s95
	s_addc_u32 s85, s85, -1
	s_cmp_eq_u32 s18, 0
	s_waitcnt vmcnt(1)
	v_mul_f32_e32 v39, v41, v37
	v_mul_f32_e32 v40, v41, v38
	s_waitcnt vmcnt(0)
	v_fmac_f32_e32 v39, v10, v42
	v_fmac_f32_e32 v40, v11, v42
	v_mul_f32_e32 v37, v42, v37
	v_mul_f32_e32 v38, v42, v38
	global_store_dwordx2 v[12:13], v[39:40], off offset:-4
	v_add_co_u32_e32 v12, vcc, s59, v12
	v_fma_f32 v10, v10, v41, -v37
	v_fma_f32 v11, v11, v41, -v38
	v_addc_co_u32_e32 v13, vcc, v13, v43, vcc
	s_cbranch_scc0 .LBB56_20
	s_branch .LBB56_18
.LBB56_21:                              ;   in Loop: Header=BB56_4 Depth=1
	s_or_b64 exec, exec, s[80:81]
	s_mov_b64 s[80:81], 0
.LBB56_22:                              ;   in Loop: Header=BB56_4 Depth=1
	s_andn2_b64 vcc, exec, s[80:81]
	s_cbranch_vccnz .LBB56_29
; %bb.23:                               ;   in Loop: Header=BB56_4 Depth=1
	s_and_saveexec_b64 s[80:81], s[0:1]
	s_cbranch_execz .LBB56_28
; %bb.24:                               ;   in Loop: Header=BB56_4 Depth=1
	s_lshl_b64 s[40:41], s[66:67], 3
	s_add_u32 s40, s45, s40
	v_mov_b32_e32 v6, v2
	s_addc_u32 s41, s51, s41
	s_mov_b64 s[82:83], 0
	v_mov_b32_e32 v5, v1
	v_mov_b32_e32 v7, v0
	s_branch .LBB56_26
.LBB56_25:                              ;   in Loop: Header=BB56_26 Depth=2
	v_add_u32_e32 v7, s58, v7
	v_cmp_le_i32_e32 vcc, s19, v7
	s_waitcnt vmcnt(0)
	global_store_dwordx2 v[8:9], v[10:11], off
	v_mov_b32_e32 v8, s63
	s_or_b64 s[82:83], vcc, s[82:83]
	v_add_co_u32_e32 v5, vcc, s62, v5
	v_addc_co_u32_e32 v6, vcc, v6, v8, vcc
	s_andn2_b64 exec, exec, s[82:83]
	s_cbranch_execz .LBB56_28
.LBB56_26:                              ;   Parent Loop BB56_4 Depth=1
                                        ; =>  This Loop Header: Depth=2
                                        ;       Child Loop BB56_27 Depth 3
	v_ashrrev_i32_e32 v8, 31, v7
	v_lshlrev_b64 v[8:9], 3, v[7:8]
	v_mov_b32_e32 v10, s41
	v_add_co_u32_e32 v8, vcc, s40, v8
	v_addc_co_u32_e32 v9, vcc, v10, v9, vcc
	global_load_dwordx2 v[10:11], v[8:9], off
	v_mov_b32_e32 v13, v6
	s_andn2_b64 vcc, exec, s[52:53]
	v_mov_b32_e32 v12, v5
	s_mov_b64 s[84:85], s[20:21]
	s_mov_b64 s[86:87], s[70:71]
	s_mov_b32 s18, s91
	s_cbranch_vccnz .LBB56_25
.LBB56_27:                              ;   Parent Loop BB56_4 Depth=1
                                        ;     Parent Loop BB56_26 Depth=2
                                        ; =>    This Inner Loop Header: Depth=3
	global_load_dwordx2 v[37:38], v[12:13], off offset:-4
	global_load_dword v41, v36, s[86:87]
	global_load_dword v42, v36, s[84:85]
	s_add_i32 s18, s18, -1
	s_add_u32 s86, s86, 4
	s_addc_u32 s87, s87, 0
	s_add_u32 s84, s84, 4
	v_mov_b32_e32 v43, s65
	s_addc_u32 s85, s85, 0
	s_cmp_eq_u32 s18, 0
	s_waitcnt vmcnt(1)
	v_mul_f32_e32 v39, v41, v37
	v_mul_f32_e32 v40, v41, v38
	s_waitcnt vmcnt(0)
	v_fmac_f32_e32 v39, v10, v42
	v_fmac_f32_e32 v40, v11, v42
	v_mul_f32_e32 v37, v42, v37
	v_mul_f32_e32 v38, v42, v38
	global_store_dwordx2 v[12:13], v[39:40], off offset:-4
	v_add_co_u32_e32 v12, vcc, s64, v12
	v_fma_f32 v10, v10, v41, -v37
	v_fma_f32 v11, v11, v41, -v38
	v_addc_co_u32_e32 v13, vcc, v13, v43, vcc
	s_cbranch_scc0 .LBB56_27
	s_branch .LBB56_25
.LBB56_28:                              ;   in Loop: Header=BB56_4 Depth=1
	s_or_b64 exec, exec, s[80:81]
.LBB56_29:                              ;   in Loop: Header=BB56_4 Depth=1
	s_mov_b64 s[80:81], 0
.LBB56_30:                              ;   in Loop: Header=BB56_4 Depth=1
	s_andn2_b64 vcc, exec, s[80:81]
	s_cbranch_vccnz .LBB56_37
; %bb.31:                               ;   in Loop: Header=BB56_4 Depth=1
	s_and_saveexec_b64 s[80:81], s[0:1]
	s_cbranch_execz .LBB56_36
; %bb.32:                               ;   in Loop: Header=BB56_4 Depth=1
	v_mov_b32_e32 v6, v4
	s_mov_b64 s[82:83], 0
	v_mov_b32_e32 v5, v3
	v_mov_b32_e32 v7, v0
	s_branch .LBB56_34
.LBB56_33:                              ;   in Loop: Header=BB56_34 Depth=2
	v_add_u32_e32 v7, s58, v7
	v_cmp_le_i32_e32 vcc, s19, v7
	s_waitcnt vmcnt(0)
	global_store_dwordx2 v[8:9], v[12:13], off
	v_mov_b32_e32 v8, s63
	s_or_b64 s[82:83], vcc, s[82:83]
	v_add_co_u32_e32 v5, vcc, s62, v5
	v_addc_co_u32_e32 v6, vcc, v6, v8, vcc
	s_andn2_b64 exec, exec, s[82:83]
	s_cbranch_execz .LBB56_36
.LBB56_34:                              ;   Parent Loop BB56_4 Depth=1
                                        ; =>  This Loop Header: Depth=2
                                        ;       Child Loop BB56_35 Depth 3
	v_ashrrev_i32_e32 v8, 31, v7
	v_lshlrev_b64 v[8:9], 3, v[7:8]
	v_mov_b32_e32 v10, s51
	v_add_co_u32_e32 v8, vcc, s45, v8
	v_addc_co_u32_e32 v9, vcc, v10, v9, vcc
	global_load_dwordx2 v[12:13], v[8:9], off
	v_mov_b32_e32 v11, v6
	s_andn2_b64 vcc, exec, s[52:53]
	v_mov_b32_e32 v10, v5
	s_mov_b64 s[84:85], s[78:79]
	s_mov_b64 s[86:87], s[76:77]
	s_mov_b32 s18, s25
	s_cbranch_vccnz .LBB56_33
.LBB56_35:                              ;   Parent Loop BB56_4 Depth=1
                                        ;     Parent Loop BB56_34 Depth=2
                                        ; =>    This Inner Loop Header: Depth=3
	global_load_dword v39, v36, s[84:85]
	global_load_dwordx2 v[37:38], v[10:11], off offset:-4
	global_load_dword v40, v36, s[86:87]
	s_add_i32 s18, s18, -1
	s_waitcnt vmcnt(3)
	v_mov_b32_e32 v41, v13
	v_mov_b32_e32 v42, v12
	s_add_u32 s86, s86, -4
	s_addc_u32 s87, s87, -1
	s_add_u32 s84, s84, -4
	v_mov_b32_e32 v43, s95
	s_addc_u32 s85, s85, -1
	s_cmp_lt_u32 s18, 3
	s_waitcnt vmcnt(2)
	v_mul_f32_e32 v44, v42, v39
	v_mul_f32_e32 v45, v41, v39
	s_waitcnt vmcnt(1)
	v_mul_f32_e32 v12, v39, v37
	v_mul_f32_e32 v13, v39, v38
	s_waitcnt vmcnt(0)
	v_fma_f32 v37, v40, v37, -v44
	v_fma_f32 v38, v40, v38, -v45
	global_store_dwordx2 v[10:11], v[37:38], off offset:-4
	v_add_co_u32_e32 v10, vcc, s59, v10
	v_fmac_f32_e32 v12, v42, v40
	v_fmac_f32_e32 v13, v41, v40
	v_addc_co_u32_e32 v11, vcc, v11, v43, vcc
	s_cbranch_scc0 .LBB56_35
	s_branch .LBB56_33
.LBB56_36:                              ;   in Loop: Header=BB56_4 Depth=1
	s_or_b64 exec, exec, s[80:81]
.LBB56_37:                              ;   in Loop: Header=BB56_4 Depth=1
	s_mov_b64 s[80:81], 0
.LBB56_38:                              ;   in Loop: Header=BB56_4 Depth=1
	s_andn2_b64 vcc, exec, s[80:81]
	s_cbranch_vccnz .LBB56_45
; %bb.39:                               ;   in Loop: Header=BB56_4 Depth=1
	s_and_saveexec_b64 s[80:81], s[0:1]
	s_cbranch_execz .LBB56_44
; %bb.40:                               ;   in Loop: Header=BB56_4 Depth=1
	v_mov_b32_e32 v6, s42
	v_add_co_u32_e32 v5, vcc, s43, v22
	v_addc_co_u32_e32 v6, vcc, v23, v6, vcc
	s_mov_b64 s[82:83], 0
	v_mov_b32_e32 v7, v0
	s_branch .LBB56_42
.LBB56_41:                              ;   in Loop: Header=BB56_42 Depth=2
	v_add_u32_e32 v7, s58, v7
	v_cmp_le_i32_e32 vcc, s19, v7
	s_waitcnt vmcnt(0)
	global_store_dwordx2 v[8:9], v[12:13], off
	v_mov_b32_e32 v8, s63
	s_or_b64 s[82:83], vcc, s[82:83]
	v_add_co_u32_e32 v5, vcc, s62, v5
	v_addc_co_u32_e32 v6, vcc, v6, v8, vcc
	s_andn2_b64 exec, exec, s[82:83]
	s_cbranch_execz .LBB56_44
.LBB56_42:                              ;   Parent Loop BB56_4 Depth=1
                                        ; =>  This Loop Header: Depth=2
                                        ;       Child Loop BB56_43 Depth 3
	v_ashrrev_i32_e32 v8, 31, v7
	v_lshlrev_b64 v[8:9], 3, v[7:8]
	v_mov_b32_e32 v10, s51
	v_add_co_u32_e32 v8, vcc, s45, v8
	v_addc_co_u32_e32 v9, vcc, v10, v9, vcc
	global_load_dwordx2 v[12:13], v[8:9], off
	v_mov_b32_e32 v11, v6
	s_andn2_b64 vcc, exec, s[52:53]
	v_mov_b32_e32 v10, v5
	s_mov_b32 s18, s91
	s_mov_b64 s[84:85], s[70:71]
	s_mov_b64 s[86:87], s[20:21]
	s_cbranch_vccnz .LBB56_41
.LBB56_43:                              ;   Parent Loop BB56_4 Depth=1
                                        ;     Parent Loop BB56_42 Depth=2
                                        ; =>    This Inner Loop Header: Depth=3
	global_load_dword v39, v36, s[86:87]
	global_load_dwordx2 v[37:38], v[10:11], off offset:-4
	global_load_dword v40, v36, s[84:85]
	s_waitcnt vmcnt(3)
	v_mov_b32_e32 v41, v13
	v_mov_b32_e32 v42, v12
	s_add_u32 s86, s86, 4
	s_addc_u32 s87, s87, 0
	s_add_u32 s84, s84, 4
	v_mov_b32_e32 v43, s65
	s_addc_u32 s85, s85, 0
	s_add_i32 s18, s18, -1
	s_cmp_eq_u32 s18, 0
	s_waitcnt vmcnt(2)
	v_mul_f32_e32 v44, v42, v39
	v_mul_f32_e32 v45, v41, v39
	s_waitcnt vmcnt(1)
	v_mul_f32_e32 v12, v39, v37
	v_mul_f32_e32 v13, v39, v38
	s_waitcnt vmcnt(0)
	v_fma_f32 v37, v40, v37, -v44
	v_fma_f32 v38, v40, v38, -v45
	global_store_dwordx2 v[10:11], v[37:38], off offset:-4
	v_add_co_u32_e32 v10, vcc, s64, v10
	v_fmac_f32_e32 v12, v42, v40
	v_fmac_f32_e32 v13, v41, v40
	v_addc_co_u32_e32 v11, vcc, v11, v43, vcc
	s_cbranch_scc0 .LBB56_43
	s_branch .LBB56_41
.LBB56_44:                              ;   in Loop: Header=BB56_4 Depth=1
	s_or_b64 exec, exec, s[80:81]
.LBB56_45:                              ;   in Loop: Header=BB56_4 Depth=1
	s_mov_b64 s[80:81], 0
.LBB56_46:                              ;   in Loop: Header=BB56_4 Depth=1
	s_andn2_b64 vcc, exec, s[80:81]
	s_cbranch_vccnz .LBB56_54
; %bb.47:                               ;   in Loop: Header=BB56_4 Depth=1
	s_and_saveexec_b64 s[80:81], s[0:1]
	s_cbranch_execz .LBB56_53
; %bb.48:                               ;   in Loop: Header=BB56_4 Depth=1
	s_lshl_b64 s[40:41], s[66:67], 3
	v_mov_b32_e32 v5, s42
	v_add_co_u32_e32 v10, vcc, s43, v14
	s_add_u32 s40, s45, s40
	v_addc_co_u32_e32 v11, vcc, v15, v5, vcc
	s_addc_u32 s41, s51, s41
	s_mov_b64 s[82:83], 0
	v_mov_b32_e32 v5, v0
	s_branch .LBB56_50
.LBB56_49:                              ;   in Loop: Header=BB56_50 Depth=2
	v_mov_b32_e32 v12, s51
	v_add_co_u32_e32 v6, vcc, s45, v6
	v_addc_co_u32_e32 v7, vcc, v12, v7, vcc
	s_waitcnt vmcnt(0)
	global_store_dwordx2 v[6:7], v[8:9], off
	v_mov_b32_e32 v6, s63
	v_add_co_u32_e32 v10, vcc, s62, v10
	v_add_u32_e32 v5, s58, v5
	v_addc_co_u32_e32 v11, vcc, v11, v6, vcc
	v_cmp_le_i32_e32 vcc, s19, v5
	s_or_b64 s[82:83], vcc, s[82:83]
	v_add_co_u32_e32 v3, vcc, s62, v3
	v_addc_co_u32_e32 v4, vcc, v4, v6, vcc
	s_andn2_b64 exec, exec, s[82:83]
	s_cbranch_execz .LBB56_53
.LBB56_50:                              ;   Parent Loop BB56_4 Depth=1
                                        ; =>  This Loop Header: Depth=2
                                        ;       Child Loop BB56_52 Depth 3
	v_ashrrev_i32_e32 v6, 31, v5
	v_lshlrev_b64 v[6:7], 3, v[5:6]
	v_mov_b32_e32 v9, s41
	v_add_co_u32_e32 v8, vcc, s40, v6
	v_addc_co_u32_e32 v9, vcc, v9, v7, vcc
	global_load_dwordx2 v[8:9], v[8:9], off
	s_andn2_b64 vcc, exec, s[52:53]
	s_cbranch_vccnz .LBB56_49
; %bb.51:                               ;   in Loop: Header=BB56_50 Depth=2
	s_mov_b64 s[84:85], 0
	s_mov_b64 s[86:87], s[78:79]
	;; [unrolled: 1-line block ×3, first 2 shown]
	s_mov_b32 s18, s91
.LBB56_52:                              ;   Parent Loop BB56_4 Depth=1
                                        ;     Parent Loop BB56_50 Depth=2
                                        ; =>    This Inner Loop Header: Depth=3
	v_mov_b32_e32 v38, s85
	v_add_co_u32_e32 v12, vcc, s84, v10
	v_addc_co_u32_e32 v13, vcc, v11, v38, vcc
	global_load_dword v39, v36, s[86:87]
	s_nop 0
	global_load_dwordx2 v[12:13], v[12:13], off
	s_nop 0
	global_load_dword v40, v36, s[88:89]
	s_add_i32 s18, s18, -1
	v_add_co_u32_e32 v37, vcc, s84, v3
	s_sub_u32 s84, s84, s64
	s_subb_u32 s85, s85, s65
	s_add_u32 s88, s88, -4
	s_addc_u32 s89, s89, -1
	s_add_u32 s86, s86, -4
	s_waitcnt vmcnt(3)
	v_mov_b32_e32 v41, v9
	v_mov_b32_e32 v42, v8
	s_addc_u32 s87, s87, -1
	v_addc_co_u32_e32 v38, vcc, v4, v38, vcc
	s_cmp_eq_u32 s18, 0
	s_waitcnt vmcnt(1)
	v_mul_f32_e32 v43, v39, v12
	v_mul_f32_e32 v44, v39, v13
	s_waitcnt vmcnt(0)
	v_mul_f32_e32 v8, v40, v12
	v_mul_f32_e32 v9, v40, v13
	v_fma_f32 v12, v42, v40, -v43
	v_fma_f32 v13, v41, v40, -v44
	v_fmac_f32_e32 v8, v42, v39
	v_fmac_f32_e32 v9, v41, v39
	global_store_dwordx2 v[37:38], v[12:13], off offset:-4
	s_cbranch_scc0 .LBB56_52
	s_branch .LBB56_49
.LBB56_53:                              ;   in Loop: Header=BB56_4 Depth=1
	s_or_b64 exec, exec, s[80:81]
.LBB56_54:                              ;   in Loop: Header=BB56_4 Depth=1
	s_mov_b64 s[76:77], 0
.LBB56_55:                              ;   in Loop: Header=BB56_4 Depth=1
	s_andn2_b64 vcc, exec, s[76:77]
	s_cbranch_vccnz .LBB56_62
; %bb.56:                               ;   in Loop: Header=BB56_4 Depth=1
	s_and_saveexec_b64 s[76:77], s[0:1]
	s_cbranch_execz .LBB56_61
; %bb.57:                               ;   in Loop: Header=BB56_4 Depth=1
	s_lshl_b64 s[40:41], s[66:67], 3
	s_add_u32 s40, s45, s40
	s_addc_u32 s41, s51, s41
	s_mov_b64 s[78:79], 0
	v_mov_b32_e32 v3, v0
	s_branch .LBB56_59
.LBB56_58:                              ;   in Loop: Header=BB56_59 Depth=2
	v_mov_b32_e32 v8, s41
	v_add_co_u32_e32 v4, vcc, s40, v4
	v_addc_co_u32_e32 v5, vcc, v8, v5, vcc
	v_add_u32_e32 v3, s58, v3
	v_cmp_le_i32_e32 vcc, s19, v3
	s_waitcnt vmcnt(0)
	global_store_dwordx2 v[4:5], v[6:7], off
	v_mov_b32_e32 v4, s63
	s_or_b64 s[78:79], vcc, s[78:79]
	v_add_co_u32_e32 v1, vcc, s62, v1
	v_addc_co_u32_e32 v2, vcc, v2, v4, vcc
	s_andn2_b64 exec, exec, s[78:79]
	s_cbranch_execz .LBB56_61
.LBB56_59:                              ;   Parent Loop BB56_4 Depth=1
                                        ; =>  This Loop Header: Depth=2
                                        ;       Child Loop BB56_60 Depth 3
	v_ashrrev_i32_e32 v4, 31, v3
	v_lshlrev_b64 v[4:5], 3, v[3:4]
	v_mov_b32_e32 v7, s51
	v_add_co_u32_e32 v6, vcc, s45, v4
	v_addc_co_u32_e32 v7, vcc, v7, v5, vcc
	global_load_dwordx2 v[6:7], v[6:7], off
	v_mov_b32_e32 v9, v2
	s_andn2_b64 vcc, exec, s[52:53]
	s_mov_b64 s[80:81], s[20:21]
	s_mov_b64 s[82:83], s[70:71]
	v_mov_b32_e32 v8, v1
	s_mov_b32 s18, s91
	s_cbranch_vccnz .LBB56_58
.LBB56_60:                              ;   Parent Loop BB56_4 Depth=1
                                        ;     Parent Loop BB56_59 Depth=2
                                        ; =>    This Inner Loop Header: Depth=3
	v_mov_b32_e32 v11, s65
	v_add_co_u32_e32 v10, vcc, s64, v8
	global_load_dword v38, v36, s[80:81]
	v_addc_co_u32_e32 v11, vcc, v9, v11, vcc
	global_load_dwordx2 v[12:13], v[10:11], off offset:-4
	global_load_dword v39, v36, s[82:83]
	s_add_i32 s18, s18, -1
	s_add_u32 s82, s82, 4
	s_addc_u32 s83, s83, 0
	s_add_u32 s80, s80, 4
	s_addc_u32 s81, s81, 0
	s_cmp_eq_u32 s18, 0
	s_waitcnt vmcnt(2)
	v_mul_f32_e32 v40, v6, v38
	v_mul_f32_e32 v41, v7, v38
	s_waitcnt vmcnt(1)
	v_mul_f32_e32 v37, v38, v12
	v_mul_f32_e32 v38, v38, v13
	s_waitcnt vmcnt(0)
	v_fmac_f32_e32 v37, v6, v39
	v_fmac_f32_e32 v38, v7, v39
	global_store_dwordx2 v[8:9], v[37:38], off offset:-4
	v_mov_b32_e32 v8, v10
	v_fma_f32 v6, v39, v12, -v40
	v_fma_f32 v7, v39, v13, -v41
	v_mov_b32_e32 v9, v11
	s_cbranch_scc0 .LBB56_60
	s_branch .LBB56_58
.LBB56_61:                              ;   in Loop: Header=BB56_4 Depth=1
	s_or_b64 exec, exec, s[76:77]
.LBB56_62:                              ;   in Loop: Header=BB56_4 Depth=1
	s_mov_b64 s[76:77], 0
.LBB56_63:                              ;   in Loop: Header=BB56_4 Depth=1
	s_andn2_b64 vcc, exec, s[76:77]
	s_cbranch_vccnz .LBB56_70
; %bb.64:                               ;   in Loop: Header=BB56_4 Depth=1
	s_and_saveexec_b64 s[76:77], s[2:3]
	s_cbranch_execz .LBB56_69
; %bb.65:                               ;   in Loop: Header=BB56_4 Depth=1
	s_lshl_b64 s[40:41], s[54:55], 3
	v_mov_b32_e32 v2, s42
	v_add_co_u32_e32 v1, vcc, s43, v26
	s_add_u32 s40, s45, s40
	v_addc_co_u32_e32 v2, vcc, v27, v2, vcc
	s_addc_u32 s41, s51, s41
	s_mov_b64 s[78:79], 0
	v_mov_b32_e32 v9, v0
	s_branch .LBB56_67
.LBB56_66:                              ;   in Loop: Header=BB56_67 Depth=2
	v_add_u32_e32 v9, s58, v9
	v_cmp_le_i32_e32 vcc, s90, v9
	s_waitcnt vmcnt(0)
	global_store_dwordx2 v[3:4], v[5:6], off offset:-8
	v_mov_b32_e32 v3, s69
	s_or_b64 s[78:79], vcc, s[78:79]
	v_add_co_u32_e32 v1, vcc, s68, v1
	v_addc_co_u32_e32 v2, vcc, v2, v3, vcc
	s_andn2_b64 exec, exec, s[78:79]
	s_cbranch_execz .LBB56_69
.LBB56_67:                              ;   Parent Loop BB56_4 Depth=1
                                        ; =>  This Loop Header: Depth=2
                                        ;       Child Loop BB56_68 Depth 3
	v_mad_i64_i32 v[3:4], s[80:81], v9, s24, 0
	v_mov_b32_e32 v5, s41
	v_mov_b32_e32 v8, v2
	v_lshlrev_b64 v[3:4], 3, v[3:4]
	v_mov_b32_e32 v7, v1
	v_add_co_u32_e32 v3, vcc, s40, v3
	v_addc_co_u32_e32 v4, vcc, v5, v4, vcc
	global_load_dwordx2 v[5:6], v[3:4], off offset:-8
	s_andn2_b64 vcc, exec, s[56:57]
	s_mov_b64 s[80:81], s[74:75]
	s_mov_b64 s[82:83], s[72:73]
	s_mov_b32 s18, s50
	s_cbranch_vccnz .LBB56_66
.LBB56_68:                              ;   Parent Loop BB56_4 Depth=1
                                        ;     Parent Loop BB56_67 Depth=2
                                        ; =>    This Inner Loop Header: Depth=3
	global_load_dwordx2 v[10:11], v[7:8], off offset:-4
	global_load_dword v37, v36, s[82:83]
	global_load_dword v38, v36, s[80:81]
	s_add_i32 s18, s18, -1
	s_add_u32 s82, s82, -4
	s_addc_u32 s83, s83, -1
	s_add_u32 s80, s80, -4
	s_addc_u32 s81, s81, -1
	s_cmp_eq_u32 s18, 0
	s_waitcnt vmcnt(1)
	v_mul_f32_e32 v12, v37, v10
	v_mul_f32_e32 v13, v37, v11
	s_waitcnt vmcnt(0)
	v_fmac_f32_e32 v12, v5, v38
	v_fmac_f32_e32 v13, v6, v38
	v_mul_f32_e32 v10, v38, v10
	v_mul_f32_e32 v11, v38, v11
	global_store_dwordx2 v[7:8], v[12:13], off offset:-4
	v_add_co_u32_e32 v7, vcc, -8, v7
	v_fma_f32 v5, v5, v37, -v10
	v_fma_f32 v6, v6, v37, -v11
	v_addc_co_u32_e32 v8, vcc, -1, v8, vcc
	s_cbranch_scc0 .LBB56_68
	s_branch .LBB56_66
.LBB56_69:                              ;   in Loop: Header=BB56_4 Depth=1
	s_or_b64 exec, exec, s[76:77]
.LBB56_70:                              ;   in Loop: Header=BB56_4 Depth=1
	s_mov_b64 s[76:77], 0
.LBB56_71:                              ;   in Loop: Header=BB56_4 Depth=1
	s_andn2_b64 vcc, exec, s[76:77]
	s_cbranch_vccnz .LBB56_78
; %bb.72:                               ;   in Loop: Header=BB56_4 Depth=1
	s_and_saveexec_b64 s[76:77], s[2:3]
	s_cbranch_execz .LBB56_77
; %bb.73:                               ;   in Loop: Header=BB56_4 Depth=1
	s_lshl_b64 s[40:41], s[54:55], 3
	v_mov_b32_e32 v2, s42
	v_add_co_u32_e32 v1, vcc, s43, v28
	s_add_u32 s40, s45, s40
	v_addc_co_u32_e32 v2, vcc, v29, v2, vcc
	s_addc_u32 s41, s51, s41
	s_mov_b64 s[78:79], 0
	v_mov_b32_e32 v9, v0
	s_branch .LBB56_75
.LBB56_74:                              ;   in Loop: Header=BB56_75 Depth=2
	v_add_u32_e32 v9, s58, v9
	v_cmp_le_i32_e32 vcc, s90, v9
	s_waitcnt vmcnt(0)
	global_store_dwordx2 v[3:4], v[5:6], off offset:-8
	v_mov_b32_e32 v3, s69
	s_or_b64 s[78:79], vcc, s[78:79]
	v_add_co_u32_e32 v1, vcc, s68, v1
	v_addc_co_u32_e32 v2, vcc, v2, v3, vcc
	s_andn2_b64 exec, exec, s[78:79]
	s_cbranch_execz .LBB56_77
.LBB56_75:                              ;   Parent Loop BB56_4 Depth=1
                                        ; =>  This Loop Header: Depth=2
                                        ;       Child Loop BB56_76 Depth 3
	v_mad_i64_i32 v[3:4], s[80:81], v9, s24, 0
	v_mov_b32_e32 v5, s41
	v_mov_b32_e32 v8, v2
	v_lshlrev_b64 v[3:4], 3, v[3:4]
	v_mov_b32_e32 v7, v1
	v_add_co_u32_e32 v3, vcc, s40, v3
	v_addc_co_u32_e32 v4, vcc, v5, v4, vcc
	global_load_dwordx2 v[5:6], v[3:4], off offset:-8
	s_andn2_b64 vcc, exec, s[56:57]
	s_mov_b64 s[80:81], s[20:21]
	s_mov_b64 s[82:83], s[70:71]
	s_mov_b32 s18, s50
	s_cbranch_vccnz .LBB56_74
.LBB56_76:                              ;   Parent Loop BB56_4 Depth=1
                                        ;     Parent Loop BB56_75 Depth=2
                                        ; =>    This Inner Loop Header: Depth=3
	global_load_dwordx2 v[10:11], v[7:8], off offset:-4
	global_load_dword v37, v36, s[82:83]
	global_load_dword v38, v36, s[80:81]
	s_add_i32 s18, s18, -1
	s_add_u32 s82, s82, 4
	s_addc_u32 s83, s83, 0
	s_add_u32 s80, s80, 4
	s_addc_u32 s81, s81, 0
	s_cmp_eq_u32 s18, 0
	s_waitcnt vmcnt(1)
	v_mul_f32_e32 v12, v37, v10
	v_mul_f32_e32 v13, v37, v11
	s_waitcnt vmcnt(0)
	v_fmac_f32_e32 v12, v5, v38
	v_fmac_f32_e32 v13, v6, v38
	v_mul_f32_e32 v10, v38, v10
	v_mul_f32_e32 v11, v38, v11
	global_store_dwordx2 v[7:8], v[12:13], off offset:-4
	v_add_co_u32_e32 v7, vcc, 8, v7
	v_fma_f32 v5, v5, v37, -v10
	v_fma_f32 v6, v6, v37, -v11
	v_addc_co_u32_e32 v8, vcc, 0, v8, vcc
	s_cbranch_scc0 .LBB56_76
	s_branch .LBB56_74
.LBB56_77:                              ;   in Loop: Header=BB56_4 Depth=1
	s_or_b64 exec, exec, s[76:77]
.LBB56_78:                              ;   in Loop: Header=BB56_4 Depth=1
	s_mov_b64 s[76:77], 0
.LBB56_79:                              ;   in Loop: Header=BB56_4 Depth=1
	s_andn2_b64 vcc, exec, s[76:77]
	s_cbranch_vccnz .LBB56_86
; %bb.80:                               ;   in Loop: Header=BB56_4 Depth=1
	s_and_saveexec_b64 s[76:77], s[2:3]
	s_cbranch_execz .LBB56_85
; %bb.81:                               ;   in Loop: Header=BB56_4 Depth=1
	v_mov_b32_e32 v2, s42
	v_add_co_u32_e32 v1, vcc, s43, v30
	v_addc_co_u32_e32 v2, vcc, v31, v2, vcc
	s_mov_b64 s[78:79], 0
	v_mov_b32_e32 v9, v0
	s_branch .LBB56_83
.LBB56_82:                              ;   in Loop: Header=BB56_83 Depth=2
	v_add_u32_e32 v9, s58, v9
	v_cmp_le_i32_e32 vcc, s90, v9
	s_waitcnt vmcnt(0)
	global_store_dwordx2 v[3:4], v[5:6], off
	v_mov_b32_e32 v3, s69
	s_or_b64 s[78:79], vcc, s[78:79]
	v_add_co_u32_e32 v1, vcc, s68, v1
	v_addc_co_u32_e32 v2, vcc, v2, v3, vcc
	s_andn2_b64 exec, exec, s[78:79]
	s_cbranch_execz .LBB56_85
.LBB56_83:                              ;   Parent Loop BB56_4 Depth=1
                                        ; =>  This Loop Header: Depth=2
                                        ;       Child Loop BB56_84 Depth 3
	v_mad_i64_i32 v[3:4], s[40:41], v9, s24, 0
	v_mov_b32_e32 v5, s51
	v_mov_b32_e32 v8, v2
	v_lshlrev_b64 v[3:4], 3, v[3:4]
	v_mov_b32_e32 v7, v1
	v_add_co_u32_e32 v3, vcc, s45, v3
	v_addc_co_u32_e32 v4, vcc, v5, v4, vcc
	global_load_dwordx2 v[5:6], v[3:4], off
	s_andn2_b64 vcc, exec, s[56:57]
	s_mov_b64 s[80:81], s[74:75]
	s_mov_b64 s[82:83], s[72:73]
	s_mov_b32 s40, s44
	s_cbranch_vccnz .LBB56_82
.LBB56_84:                              ;   Parent Loop BB56_4 Depth=1
                                        ;     Parent Loop BB56_83 Depth=2
                                        ; =>    This Inner Loop Header: Depth=3
	global_load_dword v13, v36, s[82:83]
	global_load_dword v37, v36, s[80:81]
	global_load_dwordx2 v[10:11], v[7:8], off offset:-4
	s_add_i32 s40, s40, -1
	s_waitcnt vmcnt(3)
	v_mov_b32_e32 v12, v6
	v_mov_b32_e32 v38, v5
	s_add_u32 s82, s82, -4
	s_addc_u32 s83, s83, -1
	s_add_u32 s80, s80, -4
	s_addc_u32 s81, s81, -1
	s_cmp_lt_u32 s40, 3
	s_waitcnt vmcnt(1)
	v_mul_f32_e32 v5, v38, v37
	v_mul_f32_e32 v6, v12, v37
	s_waitcnt vmcnt(0)
	v_fma_f32 v5, v13, v10, -v5
	v_fma_f32 v6, v13, v11, -v6
	global_store_dwordx2 v[7:8], v[5:6], off offset:-4
	v_mul_f32_e32 v5, v37, v10
	v_mul_f32_e32 v6, v37, v11
	v_add_co_u32_e32 v7, vcc, -8, v7
	v_fmac_f32_e32 v5, v38, v13
	v_fmac_f32_e32 v6, v12, v13
	v_addc_co_u32_e32 v8, vcc, -1, v8, vcc
	s_cbranch_scc0 .LBB56_84
	s_branch .LBB56_82
.LBB56_85:                              ;   in Loop: Header=BB56_4 Depth=1
	s_or_b64 exec, exec, s[76:77]
.LBB56_86:                              ;   in Loop: Header=BB56_4 Depth=1
	s_mov_b64 s[76:77], 0
.LBB56_87:                              ;   in Loop: Header=BB56_4 Depth=1
	s_andn2_b64 vcc, exec, s[76:77]
	s_cbranch_vccnz .LBB56_94
; %bb.88:                               ;   in Loop: Header=BB56_4 Depth=1
	s_and_saveexec_b64 s[76:77], s[2:3]
	s_cbranch_execz .LBB56_93
; %bb.89:                               ;   in Loop: Header=BB56_4 Depth=1
	v_mov_b32_e32 v2, s42
	v_add_co_u32_e32 v1, vcc, s43, v32
	v_addc_co_u32_e32 v2, vcc, v33, v2, vcc
	s_mov_b64 s[78:79], 0
	v_mov_b32_e32 v9, v0
	s_branch .LBB56_91
.LBB56_90:                              ;   in Loop: Header=BB56_91 Depth=2
	v_add_u32_e32 v9, s58, v9
	v_cmp_le_i32_e32 vcc, s90, v9
	s_waitcnt vmcnt(0)
	global_store_dwordx2 v[3:4], v[5:6], off
	v_mov_b32_e32 v3, s69
	s_or_b64 s[78:79], vcc, s[78:79]
	v_add_co_u32_e32 v1, vcc, s68, v1
	v_addc_co_u32_e32 v2, vcc, v2, v3, vcc
	s_andn2_b64 exec, exec, s[78:79]
	s_cbranch_execz .LBB56_93
.LBB56_91:                              ;   Parent Loop BB56_4 Depth=1
                                        ; =>  This Loop Header: Depth=2
                                        ;       Child Loop BB56_92 Depth 3
	v_mad_i64_i32 v[3:4], s[40:41], v9, s24, 0
	v_mov_b32_e32 v5, s51
	v_mov_b32_e32 v8, v2
	v_lshlrev_b64 v[3:4], 3, v[3:4]
	v_mov_b32_e32 v7, v1
	v_add_co_u32_e32 v3, vcc, s45, v3
	v_addc_co_u32_e32 v4, vcc, v5, v4, vcc
	global_load_dwordx2 v[5:6], v[3:4], off
	s_andn2_b64 vcc, exec, s[56:57]
	s_mov_b32 s40, s50
	s_mov_b64 s[80:81], s[70:71]
	s_mov_b64 s[82:83], s[20:21]
	s_cbranch_vccnz .LBB56_90
.LBB56_92:                              ;   Parent Loop BB56_4 Depth=1
                                        ;     Parent Loop BB56_91 Depth=2
                                        ; =>    This Inner Loop Header: Depth=3
	global_load_dword v13, v36, s[80:81]
	global_load_dword v37, v36, s[82:83]
	global_load_dwordx2 v[10:11], v[7:8], off
	s_waitcnt vmcnt(3)
	v_mov_b32_e32 v12, v6
	v_mov_b32_e32 v38, v5
	s_add_u32 s82, s82, 4
	s_addc_u32 s83, s83, 0
	s_add_u32 s80, s80, 4
	s_addc_u32 s81, s81, 0
	s_add_i32 s40, s40, -1
	s_cmp_eq_u32 s40, 0
	s_waitcnt vmcnt(1)
	v_mul_f32_e32 v5, v38, v37
	v_mul_f32_e32 v6, v12, v37
	s_waitcnt vmcnt(0)
	v_fma_f32 v5, v13, v10, -v5
	v_fma_f32 v6, v13, v11, -v6
	global_store_dwordx2 v[7:8], v[5:6], off
	v_mul_f32_e32 v5, v37, v10
	v_mul_f32_e32 v6, v37, v11
	v_add_co_u32_e32 v7, vcc, 8, v7
	v_fmac_f32_e32 v5, v38, v13
	v_fmac_f32_e32 v6, v12, v13
	v_addc_co_u32_e32 v8, vcc, 0, v8, vcc
	s_cbranch_scc0 .LBB56_92
	s_branch .LBB56_90
.LBB56_93:                              ;   in Loop: Header=BB56_4 Depth=1
	s_or_b64 exec, exec, s[76:77]
.LBB56_94:                              ;   in Loop: Header=BB56_4 Depth=1
	s_mov_b64 s[76:77], 0
.LBB56_95:                              ;   in Loop: Header=BB56_4 Depth=1
	s_andn2_b64 vcc, exec, s[76:77]
	s_cbranch_vccnz .LBB56_102
; %bb.96:                               ;   in Loop: Header=BB56_4 Depth=1
	s_and_saveexec_b64 s[76:77], s[2:3]
	s_cbranch_execz .LBB56_101
; %bb.97:                               ;   in Loop: Header=BB56_4 Depth=1
	s_lshl_b64 s[40:41], s[54:55], 3
	v_mov_b32_e32 v2, s42
	v_add_co_u32_e32 v1, vcc, s43, v24
	s_add_u32 s40, s45, s40
	v_addc_co_u32_e32 v2, vcc, v25, v2, vcc
	s_addc_u32 s41, s51, s41
	s_mov_b64 s[78:79], 0
	v_mov_b32_e32 v9, v0
	s_branch .LBB56_99
.LBB56_98:                              ;   in Loop: Header=BB56_99 Depth=2
	v_mov_b32_e32 v5, s51
	v_add_co_u32_e32 v3, vcc, s45, v3
	v_addc_co_u32_e32 v4, vcc, v5, v4, vcc
	v_add_u32_e32 v9, s58, v9
	v_cmp_le_i32_e32 vcc, s90, v9
	s_waitcnt vmcnt(0)
	global_store_dwordx2 v[3:4], v[7:8], off
	v_mov_b32_e32 v3, s69
	s_or_b64 s[78:79], vcc, s[78:79]
	v_add_co_u32_e32 v1, vcc, s68, v1
	v_addc_co_u32_e32 v2, vcc, v2, v3, vcc
	s_andn2_b64 exec, exec, s[78:79]
	s_cbranch_execz .LBB56_101
.LBB56_99:                              ;   Parent Loop BB56_4 Depth=1
                                        ; =>  This Loop Header: Depth=2
                                        ;       Child Loop BB56_100 Depth 3
	v_mad_i64_i32 v[3:4], s[80:81], v9, s24, 0
	v_mov_b32_e32 v6, s41
	s_mov_b64 s[80:81], s[74:75]
	v_lshlrev_b64 v[3:4], 3, v[3:4]
	s_mov_b64 s[82:83], s[72:73]
	v_add_co_u32_e32 v5, vcc, s40, v3
	v_addc_co_u32_e32 v6, vcc, v6, v4, vcc
	global_load_dwordx2 v[7:8], v[5:6], off offset:-8
	v_mov_b32_e32 v6, v2
	s_andn2_b64 vcc, exec, s[56:57]
	v_mov_b32_e32 v5, v1
	s_mov_b32 s18, s50
	s_cbranch_vccnz .LBB56_98
.LBB56_100:                             ;   Parent Loop BB56_4 Depth=1
                                        ;     Parent Loop BB56_99 Depth=2
                                        ; =>    This Inner Loop Header: Depth=3
	global_load_dwordx2 v[10:11], v[5:6], off
	global_load_dword v12, v36, s[80:81]
	global_load_dword v13, v36, s[82:83]
	s_add_i32 s18, s18, -1
	s_add_u32 s82, s82, -4
	s_waitcnt vmcnt(3)
	v_mov_b32_e32 v37, v8
	v_mov_b32_e32 v38, v7
	s_addc_u32 s83, s83, -1
	s_add_u32 s80, s80, -4
	s_addc_u32 s81, s81, -1
	s_cmp_eq_u32 s18, 0
	s_waitcnt vmcnt(1)
	v_mul_f32_e32 v39, v12, v10
	v_mul_f32_e32 v40, v12, v11
	s_waitcnt vmcnt(0)
	v_mul_f32_e32 v7, v13, v10
	v_mul_f32_e32 v8, v13, v11
	v_fma_f32 v10, v38, v13, -v39
	v_fma_f32 v11, v37, v13, -v40
	global_store_dwordx2 v[5:6], v[10:11], off offset:8
	v_add_co_u32_e32 v5, vcc, -8, v5
	v_fmac_f32_e32 v7, v38, v12
	v_fmac_f32_e32 v8, v37, v12
	v_addc_co_u32_e32 v6, vcc, -1, v6, vcc
	s_cbranch_scc0 .LBB56_100
	s_branch .LBB56_98
.LBB56_101:                             ;   in Loop: Header=BB56_4 Depth=1
	s_or_b64 exec, exec, s[76:77]
.LBB56_102:                             ;   in Loop: Header=BB56_4 Depth=1
	s_cbranch_execnz .LBB56_3
.LBB56_103:                             ;   in Loop: Header=BB56_4 Depth=1
	s_and_saveexec_b64 s[72:73], s[2:3]
	s_cbranch_execz .LBB56_2
; %bb.104:                              ;   in Loop: Header=BB56_4 Depth=1
	s_lshl_b64 s[40:41], s[54:55], 3
	v_mov_b32_e32 v2, s42
	v_add_co_u32_e32 v1, vcc, s43, v34
	s_add_u32 s40, s45, s40
	v_addc_co_u32_e32 v2, vcc, v35, v2, vcc
	s_addc_u32 s41, s51, s41
	s_mov_b64 s[74:75], 0
	v_mov_b32_e32 v9, v0
	s_branch .LBB56_106
.LBB56_105:                             ;   in Loop: Header=BB56_106 Depth=2
	v_mov_b32_e32 v7, s41
	v_add_co_u32_e32 v3, vcc, s40, v3
	v_addc_co_u32_e32 v4, vcc, v7, v4, vcc
	v_add_u32_e32 v9, s58, v9
	v_cmp_le_i32_e32 vcc, s90, v9
	s_waitcnt vmcnt(0)
	global_store_dwordx2 v[3:4], v[5:6], off offset:-8
	v_mov_b32_e32 v3, s69
	s_or_b64 s[74:75], vcc, s[74:75]
	v_add_co_u32_e32 v1, vcc, s68, v1
	v_addc_co_u32_e32 v2, vcc, v2, v3, vcc
	s_andn2_b64 exec, exec, s[74:75]
	s_cbranch_execz .LBB56_2
.LBB56_106:                             ;   Parent Loop BB56_4 Depth=1
                                        ; =>  This Loop Header: Depth=2
                                        ;       Child Loop BB56_107 Depth 3
	v_mad_i64_i32 v[3:4], s[42:43], v9, s24, 0
	v_mov_b32_e32 v6, s51
	v_mov_b32_e32 v8, v2
	v_lshlrev_b64 v[3:4], 3, v[3:4]
	v_mov_b32_e32 v7, v1
	v_add_co_u32_e32 v5, vcc, s45, v3
	v_addc_co_u32_e32 v6, vcc, v6, v4, vcc
	global_load_dwordx2 v[5:6], v[5:6], off
	s_andn2_b64 vcc, exec, s[56:57]
	s_mov_b64 s[76:77], s[70:71]
	s_mov_b64 s[78:79], s[20:21]
	s_mov_b32 s42, s50
	s_cbranch_vccnz .LBB56_105
.LBB56_107:                             ;   Parent Loop BB56_4 Depth=1
                                        ;     Parent Loop BB56_106 Depth=2
                                        ; =>    This Inner Loop Header: Depth=3
	global_load_dword v37, v36, s[76:77]
	global_load_dword v38, v36, s[78:79]
	global_load_dwordx2 v[10:11], v[7:8], off offset:-4
	s_add_i32 s42, s42, -1
	s_add_u32 s78, s78, 4
	s_addc_u32 s79, s79, 0
	s_add_u32 s76, s76, 4
	s_addc_u32 s77, s77, 0
	s_cmp_eq_u32 s42, 0
	s_waitcnt vmcnt(0)
	v_mul_f32_e32 v12, v38, v10
	v_mul_f32_e32 v13, v38, v11
	v_fmac_f32_e32 v12, v5, v37
	v_fmac_f32_e32 v13, v6, v37
	global_store_dwordx2 v[7:8], v[12:13], off offset:-12
	v_mul_f32_e32 v5, v5, v38
	v_mul_f32_e32 v6, v6, v38
	v_add_co_u32_e32 v7, vcc, 8, v7
	v_fma_f32 v5, v37, v10, -v5
	v_fma_f32 v6, v37, v11, -v6
	v_addc_co_u32_e32 v8, vcc, 0, v8, vcc
	s_cbranch_scc0 .LBB56_107
	s_branch .LBB56_105
.LBB56_108:
	s_endpgm
	.section	.rodata,"a",@progbits
	.p2align	6, 0x0
	.amdhsa_kernel _ZN9rocsolver6v33100L11lasr_kernelI19rocblas_complex_numIfEfPS3_iEEv13rocblas_side_14rocblas_pivot_15rocblas_direct_T2_S8_PT0_lSA_lT1_lS8_lS8_
		.amdhsa_group_segment_fixed_size 0
		.amdhsa_private_segment_fixed_size 0
		.amdhsa_kernarg_size 352
		.amdhsa_user_sgpr_count 6
		.amdhsa_user_sgpr_private_segment_buffer 1
		.amdhsa_user_sgpr_dispatch_ptr 0
		.amdhsa_user_sgpr_queue_ptr 0
		.amdhsa_user_sgpr_kernarg_segment_ptr 1
		.amdhsa_user_sgpr_dispatch_id 0
		.amdhsa_user_sgpr_flat_scratch_init 0
		.amdhsa_user_sgpr_private_segment_size 0
		.amdhsa_uses_dynamic_stack 0
		.amdhsa_system_sgpr_private_segment_wavefront_offset 0
		.amdhsa_system_sgpr_workgroup_id_x 1
		.amdhsa_system_sgpr_workgroup_id_y 0
		.amdhsa_system_sgpr_workgroup_id_z 1
		.amdhsa_system_sgpr_workgroup_info 0
		.amdhsa_system_vgpr_workitem_id 0
		.amdhsa_next_free_vgpr 47
		.amdhsa_next_free_sgpr 96
		.amdhsa_reserve_vcc 1
		.amdhsa_reserve_flat_scratch 0
		.amdhsa_float_round_mode_32 0
		.amdhsa_float_round_mode_16_64 0
		.amdhsa_float_denorm_mode_32 3
		.amdhsa_float_denorm_mode_16_64 3
		.amdhsa_dx10_clamp 1
		.amdhsa_ieee_mode 1
		.amdhsa_fp16_overflow 0
		.amdhsa_exception_fp_ieee_invalid_op 0
		.amdhsa_exception_fp_denorm_src 0
		.amdhsa_exception_fp_ieee_div_zero 0
		.amdhsa_exception_fp_ieee_overflow 0
		.amdhsa_exception_fp_ieee_underflow 0
		.amdhsa_exception_fp_ieee_inexact 0
		.amdhsa_exception_int_div_zero 0
	.end_amdhsa_kernel
	.section	.text._ZN9rocsolver6v33100L11lasr_kernelI19rocblas_complex_numIfEfPS3_iEEv13rocblas_side_14rocblas_pivot_15rocblas_direct_T2_S8_PT0_lSA_lT1_lS8_lS8_,"axG",@progbits,_ZN9rocsolver6v33100L11lasr_kernelI19rocblas_complex_numIfEfPS3_iEEv13rocblas_side_14rocblas_pivot_15rocblas_direct_T2_S8_PT0_lSA_lT1_lS8_lS8_,comdat
.Lfunc_end56:
	.size	_ZN9rocsolver6v33100L11lasr_kernelI19rocblas_complex_numIfEfPS3_iEEv13rocblas_side_14rocblas_pivot_15rocblas_direct_T2_S8_PT0_lSA_lT1_lS8_lS8_, .Lfunc_end56-_ZN9rocsolver6v33100L11lasr_kernelI19rocblas_complex_numIfEfPS3_iEEv13rocblas_side_14rocblas_pivot_15rocblas_direct_T2_S8_PT0_lSA_lT1_lS8_lS8_
                                        ; -- End function
	.set _ZN9rocsolver6v33100L11lasr_kernelI19rocblas_complex_numIfEfPS3_iEEv13rocblas_side_14rocblas_pivot_15rocblas_direct_T2_S8_PT0_lSA_lT1_lS8_lS8_.num_vgpr, 47
	.set _ZN9rocsolver6v33100L11lasr_kernelI19rocblas_complex_numIfEfPS3_iEEv13rocblas_side_14rocblas_pivot_15rocblas_direct_T2_S8_PT0_lSA_lT1_lS8_lS8_.num_agpr, 0
	.set _ZN9rocsolver6v33100L11lasr_kernelI19rocblas_complex_numIfEfPS3_iEEv13rocblas_side_14rocblas_pivot_15rocblas_direct_T2_S8_PT0_lSA_lT1_lS8_lS8_.numbered_sgpr, 96
	.set _ZN9rocsolver6v33100L11lasr_kernelI19rocblas_complex_numIfEfPS3_iEEv13rocblas_side_14rocblas_pivot_15rocblas_direct_T2_S8_PT0_lSA_lT1_lS8_lS8_.num_named_barrier, 0
	.set _ZN9rocsolver6v33100L11lasr_kernelI19rocblas_complex_numIfEfPS3_iEEv13rocblas_side_14rocblas_pivot_15rocblas_direct_T2_S8_PT0_lSA_lT1_lS8_lS8_.private_seg_size, 0
	.set _ZN9rocsolver6v33100L11lasr_kernelI19rocblas_complex_numIfEfPS3_iEEv13rocblas_side_14rocblas_pivot_15rocblas_direct_T2_S8_PT0_lSA_lT1_lS8_lS8_.uses_vcc, 1
	.set _ZN9rocsolver6v33100L11lasr_kernelI19rocblas_complex_numIfEfPS3_iEEv13rocblas_side_14rocblas_pivot_15rocblas_direct_T2_S8_PT0_lSA_lT1_lS8_lS8_.uses_flat_scratch, 0
	.set _ZN9rocsolver6v33100L11lasr_kernelI19rocblas_complex_numIfEfPS3_iEEv13rocblas_side_14rocblas_pivot_15rocblas_direct_T2_S8_PT0_lSA_lT1_lS8_lS8_.has_dyn_sized_stack, 0
	.set _ZN9rocsolver6v33100L11lasr_kernelI19rocblas_complex_numIfEfPS3_iEEv13rocblas_side_14rocblas_pivot_15rocblas_direct_T2_S8_PT0_lSA_lT1_lS8_lS8_.has_recursion, 0
	.set _ZN9rocsolver6v33100L11lasr_kernelI19rocblas_complex_numIfEfPS3_iEEv13rocblas_side_14rocblas_pivot_15rocblas_direct_T2_S8_PT0_lSA_lT1_lS8_lS8_.has_indirect_call, 0
	.section	.AMDGPU.csdata,"",@progbits
; Kernel info:
; codeLenInByte = 4780
; TotalNumSgprs: 100
; NumVgprs: 47
; ScratchSize: 0
; MemoryBound: 0
; FloatMode: 240
; IeeeMode: 1
; LDSByteSize: 0 bytes/workgroup (compile time only)
; SGPRBlocks: 12
; VGPRBlocks: 11
; NumSGPRsForWavesPerEU: 100
; NumVGPRsForWavesPerEU: 47
; Occupancy: 5
; WaveLimiterHint : 0
; COMPUTE_PGM_RSRC2:SCRATCH_EN: 0
; COMPUTE_PGM_RSRC2:USER_SGPR: 6
; COMPUTE_PGM_RSRC2:TRAP_HANDLER: 0
; COMPUTE_PGM_RSRC2:TGID_X_EN: 1
; COMPUTE_PGM_RSRC2:TGID_Y_EN: 0
; COMPUTE_PGM_RSRC2:TGID_Z_EN: 1
; COMPUTE_PGM_RSRC2:TIDIG_COMP_CNT: 0
	.section	.text._ZN9rocsolver6v33100L11swap_kernelI19rocblas_complex_numIfEiEEvT0_PT_S4_S6_S4_,"axG",@progbits,_ZN9rocsolver6v33100L11swap_kernelI19rocblas_complex_numIfEiEEvT0_PT_S4_S6_S4_,comdat
	.globl	_ZN9rocsolver6v33100L11swap_kernelI19rocblas_complex_numIfEiEEvT0_PT_S4_S6_S4_ ; -- Begin function _ZN9rocsolver6v33100L11swap_kernelI19rocblas_complex_numIfEiEEvT0_PT_S4_S6_S4_
	.p2align	8
	.type	_ZN9rocsolver6v33100L11swap_kernelI19rocblas_complex_numIfEiEEvT0_PT_S4_S6_S4_,@function
_ZN9rocsolver6v33100L11swap_kernelI19rocblas_complex_numIfEiEEvT0_PT_S4_S6_S4_: ; @_ZN9rocsolver6v33100L11swap_kernelI19rocblas_complex_numIfEiEEvT0_PT_S4_S6_S4_
; %bb.0:
	s_load_dword s16, s[4:5], 0x0
	s_waitcnt lgkmcnt(0)
	s_cmp_lt_i32 s16, 1
	s_cbranch_scc1 .LBB57_10
; %bb.1:
	s_load_dword s0, s[4:5], 0x28
	s_load_dword s1, s[4:5], 0x34
	s_load_dwordx2 s[2:3], s[4:5], 0x8
	s_load_dword s12, s[4:5], 0x10
	s_load_dwordx2 s[8:9], s[4:5], 0x18
	s_load_dword s10, s[4:5], 0x20
	s_waitcnt lgkmcnt(0)
	s_and_b32 s1, s1, 0xffff
	s_mul_i32 s6, s6, s1
	s_cmp_eq_u32 s12, 1
	s_mul_i32 s4, s0, s1
	s_cselect_b64 s[0:1], -1, 0
	s_cmp_eq_u32 s10, 1
	v_add_u32_e32 v0, s6, v0
	s_cselect_b64 s[6:7], -1, 0
	s_and_b64 s[14:15], s[0:1], s[6:7]
	v_cmp_gt_i32_e64 s[0:1], s16, v0
	s_mov_b64 s[6:7], -1
	s_and_b64 vcc, exec, s[14:15]
	s_cbranch_vccnz .LBB57_6
; %bb.2:
	s_and_saveexec_b64 s[6:7], s[0:1]
	s_cbranch_execz .LBB57_5
; %bb.3:
	v_mad_i64_i32 v[1:2], s[14:15], s10, v0, 0
	v_mov_b32_e32 v3, s9
	s_mul_hi_i32 s11, s10, s4
	v_lshlrev_b64 v[1:2], 3, v[1:2]
	s_mul_i32 s10, s10, s4
	v_add_co_u32_e32 v1, vcc, s8, v1
	v_addc_co_u32_e32 v2, vcc, v3, v2, vcc
	v_mad_i64_i32 v[3:4], s[14:15], s12, v0, 0
	s_mul_hi_i32 s13, s12, s4
	s_mul_i32 s12, s12, s4
	v_lshlrev_b64 v[3:4], 3, v[3:4]
	s_lshl_b64 s[10:11], s[10:11], 3
	v_mov_b32_e32 v5, s3
	v_add_co_u32_e32 v3, vcc, s2, v3
	s_lshl_b64 s[12:13], s[12:13], 3
	v_addc_co_u32_e32 v4, vcc, v5, v4, vcc
	s_mov_b64 s[14:15], 0
	v_mov_b32_e32 v5, s11
	v_mov_b32_e32 v6, s13
	;; [unrolled: 1-line block ×3, first 2 shown]
.LBB57_4:                               ; =>This Inner Loop Header: Depth=1
	global_load_dwordx2 v[8:9], v[3:4], off
	global_load_dwordx2 v[10:11], v[1:2], off
	v_add_u32_e32 v7, s4, v7
	v_cmp_le_i32_e32 vcc, s16, v7
	s_or_b64 s[14:15], vcc, s[14:15]
	s_waitcnt vmcnt(1)
	global_store_dwordx2 v[1:2], v[8:9], off
	s_waitcnt vmcnt(1)
	global_store_dwordx2 v[3:4], v[10:11], off
	v_add_co_u32_e32 v1, vcc, s10, v1
	v_addc_co_u32_e32 v2, vcc, v2, v5, vcc
	v_add_co_u32_e32 v3, vcc, s12, v3
	v_addc_co_u32_e32 v4, vcc, v4, v6, vcc
	s_andn2_b64 exec, exec, s[14:15]
	s_cbranch_execnz .LBB57_4
.LBB57_5:
	s_or_b64 exec, exec, s[6:7]
	s_mov_b64 s[6:7], 0
.LBB57_6:
	s_andn2_b64 vcc, exec, s[6:7]
	s_cbranch_vccnz .LBB57_10
; %bb.7:
	s_and_saveexec_b64 s[6:7], s[0:1]
	s_cbranch_execz .LBB57_10
; %bb.8:
	v_ashrrev_i32_e32 v1, 31, v0
	s_ashr_i32 s5, s4, 31
	v_lshlrev_b64 v[1:2], 3, v[0:1]
	s_lshl_b64 s[0:1], s[4:5], 3
	s_mov_b64 s[6:7], 0
	v_mov_b32_e32 v3, s9
	v_mov_b32_e32 v4, s3
	;; [unrolled: 1-line block ×3, first 2 shown]
.LBB57_9:                               ; =>This Inner Loop Header: Depth=1
	v_add_co_u32_e32 v6, vcc, s8, v1
	v_addc_co_u32_e32 v7, vcc, v3, v2, vcc
	v_add_co_u32_e32 v8, vcc, s2, v1
	v_addc_co_u32_e32 v9, vcc, v4, v2, vcc
	global_load_dwordx2 v[10:11], v[8:9], off
	global_load_dwordx2 v[12:13], v[6:7], off
	v_add_co_u32_e32 v1, vcc, s0, v1
	v_add_u32_e32 v0, s4, v0
	v_addc_co_u32_e32 v2, vcc, v2, v5, vcc
	v_cmp_le_i32_e32 vcc, s16, v0
	s_or_b64 s[6:7], vcc, s[6:7]
	s_waitcnt vmcnt(1)
	global_store_dwordx2 v[6:7], v[10:11], off
	s_waitcnt vmcnt(1)
	global_store_dwordx2 v[8:9], v[12:13], off
	s_andn2_b64 exec, exec, s[6:7]
	s_cbranch_execnz .LBB57_9
.LBB57_10:
	s_endpgm
	.section	.rodata,"a",@progbits
	.p2align	6, 0x0
	.amdhsa_kernel _ZN9rocsolver6v33100L11swap_kernelI19rocblas_complex_numIfEiEEvT0_PT_S4_S6_S4_
		.amdhsa_group_segment_fixed_size 0
		.amdhsa_private_segment_fixed_size 0
		.amdhsa_kernarg_size 296
		.amdhsa_user_sgpr_count 6
		.amdhsa_user_sgpr_private_segment_buffer 1
		.amdhsa_user_sgpr_dispatch_ptr 0
		.amdhsa_user_sgpr_queue_ptr 0
		.amdhsa_user_sgpr_kernarg_segment_ptr 1
		.amdhsa_user_sgpr_dispatch_id 0
		.amdhsa_user_sgpr_flat_scratch_init 0
		.amdhsa_user_sgpr_private_segment_size 0
		.amdhsa_uses_dynamic_stack 0
		.amdhsa_system_sgpr_private_segment_wavefront_offset 0
		.amdhsa_system_sgpr_workgroup_id_x 1
		.amdhsa_system_sgpr_workgroup_id_y 0
		.amdhsa_system_sgpr_workgroup_id_z 0
		.amdhsa_system_sgpr_workgroup_info 0
		.amdhsa_system_vgpr_workitem_id 0
		.amdhsa_next_free_vgpr 14
		.amdhsa_next_free_sgpr 17
		.amdhsa_reserve_vcc 1
		.amdhsa_reserve_flat_scratch 0
		.amdhsa_float_round_mode_32 0
		.amdhsa_float_round_mode_16_64 0
		.amdhsa_float_denorm_mode_32 3
		.amdhsa_float_denorm_mode_16_64 3
		.amdhsa_dx10_clamp 1
		.amdhsa_ieee_mode 1
		.amdhsa_fp16_overflow 0
		.amdhsa_exception_fp_ieee_invalid_op 0
		.amdhsa_exception_fp_denorm_src 0
		.amdhsa_exception_fp_ieee_div_zero 0
		.amdhsa_exception_fp_ieee_overflow 0
		.amdhsa_exception_fp_ieee_underflow 0
		.amdhsa_exception_fp_ieee_inexact 0
		.amdhsa_exception_int_div_zero 0
	.end_amdhsa_kernel
	.section	.text._ZN9rocsolver6v33100L11swap_kernelI19rocblas_complex_numIfEiEEvT0_PT_S4_S6_S4_,"axG",@progbits,_ZN9rocsolver6v33100L11swap_kernelI19rocblas_complex_numIfEiEEvT0_PT_S4_S6_S4_,comdat
.Lfunc_end57:
	.size	_ZN9rocsolver6v33100L11swap_kernelI19rocblas_complex_numIfEiEEvT0_PT_S4_S6_S4_, .Lfunc_end57-_ZN9rocsolver6v33100L11swap_kernelI19rocblas_complex_numIfEiEEvT0_PT_S4_S6_S4_
                                        ; -- End function
	.set _ZN9rocsolver6v33100L11swap_kernelI19rocblas_complex_numIfEiEEvT0_PT_S4_S6_S4_.num_vgpr, 14
	.set _ZN9rocsolver6v33100L11swap_kernelI19rocblas_complex_numIfEiEEvT0_PT_S4_S6_S4_.num_agpr, 0
	.set _ZN9rocsolver6v33100L11swap_kernelI19rocblas_complex_numIfEiEEvT0_PT_S4_S6_S4_.numbered_sgpr, 17
	.set _ZN9rocsolver6v33100L11swap_kernelI19rocblas_complex_numIfEiEEvT0_PT_S4_S6_S4_.num_named_barrier, 0
	.set _ZN9rocsolver6v33100L11swap_kernelI19rocblas_complex_numIfEiEEvT0_PT_S4_S6_S4_.private_seg_size, 0
	.set _ZN9rocsolver6v33100L11swap_kernelI19rocblas_complex_numIfEiEEvT0_PT_S4_S6_S4_.uses_vcc, 1
	.set _ZN9rocsolver6v33100L11swap_kernelI19rocblas_complex_numIfEiEEvT0_PT_S4_S6_S4_.uses_flat_scratch, 0
	.set _ZN9rocsolver6v33100L11swap_kernelI19rocblas_complex_numIfEiEEvT0_PT_S4_S6_S4_.has_dyn_sized_stack, 0
	.set _ZN9rocsolver6v33100L11swap_kernelI19rocblas_complex_numIfEiEEvT0_PT_S4_S6_S4_.has_recursion, 0
	.set _ZN9rocsolver6v33100L11swap_kernelI19rocblas_complex_numIfEiEEvT0_PT_S4_S6_S4_.has_indirect_call, 0
	.section	.AMDGPU.csdata,"",@progbits
; Kernel info:
; codeLenInByte = 460
; TotalNumSgprs: 21
; NumVgprs: 14
; ScratchSize: 0
; MemoryBound: 0
; FloatMode: 240
; IeeeMode: 1
; LDSByteSize: 0 bytes/workgroup (compile time only)
; SGPRBlocks: 2
; VGPRBlocks: 3
; NumSGPRsForWavesPerEU: 21
; NumVGPRsForWavesPerEU: 14
; Occupancy: 10
; WaveLimiterHint : 0
; COMPUTE_PGM_RSRC2:SCRATCH_EN: 0
; COMPUTE_PGM_RSRC2:USER_SGPR: 6
; COMPUTE_PGM_RSRC2:TRAP_HANDLER: 0
; COMPUTE_PGM_RSRC2:TGID_X_EN: 1
; COMPUTE_PGM_RSRC2:TGID_Y_EN: 0
; COMPUTE_PGM_RSRC2:TGID_Z_EN: 0
; COMPUTE_PGM_RSRC2:TIDIG_COMP_CNT: 0
	.section	.text._ZN9rocsolver6v33100L12steqr_kernelI19rocblas_complex_numIfEfPS3_EEviPT0_lS6_lT1_iilPiS6_iS5_S5_S5_,"axG",@progbits,_ZN9rocsolver6v33100L12steqr_kernelI19rocblas_complex_numIfEfPS3_EEviPT0_lS6_lT1_iilPiS6_iS5_S5_S5_,comdat
	.globl	_ZN9rocsolver6v33100L12steqr_kernelI19rocblas_complex_numIfEfPS3_EEviPT0_lS6_lT1_iilPiS6_iS5_S5_S5_ ; -- Begin function _ZN9rocsolver6v33100L12steqr_kernelI19rocblas_complex_numIfEfPS3_EEviPT0_lS6_lT1_iilPiS6_iS5_S5_S5_
	.p2align	8
	.type	_ZN9rocsolver6v33100L12steqr_kernelI19rocblas_complex_numIfEfPS3_EEviPT0_lS6_lT1_iilPiS6_iS5_S5_S5_,@function
_ZN9rocsolver6v33100L12steqr_kernelI19rocblas_complex_numIfEfPS3_EEviPT0_lS6_lT1_iilPiS6_iS5_S5_S5_: ; @_ZN9rocsolver6v33100L12steqr_kernelI19rocblas_complex_numIfEfPS3_EEviPT0_lS6_lT1_iilPiS6_iS5_S5_S5_
; %bb.0:
	s_load_dword s0, s[4:5], 0x6c
	s_load_dword s8, s[4:5], 0x60
	s_mov_b32 s38, s7
	s_waitcnt lgkmcnt(0)
	s_and_b32 s9, s0, 0xffff
	s_mul_i32 s6, s6, s9
	v_add_u32_e32 v0, s6, v0
	v_cmp_eq_u32_e64 s[0:1], 0, v0
	s_and_saveexec_b64 s[2:3], s[0:1]
; %bb.1:
	v_mov_b32_e32 v1, 0
	ds_write2_b32 v1, v1, v1 offset0:3 offset1:7
; %bb.2:
	s_or_b64 exec, exec, s[2:3]
	s_load_dword s10, s[4:5], 0x0
	s_load_dwordx8 s[20:27], s[4:5], 0x8
	s_load_dwordx8 s[12:19], s[4:5], 0x28
	s_load_dwordx2 s[6:7], s[4:5], 0x48
	s_load_dwordx4 s[28:31], s[4:5], 0x50
	s_ashr_i32 s39, s38, 31
	s_waitcnt lgkmcnt(0)
	s_mul_hi_u32 s2, s22, s38
	s_mul_i32 s3, s22, s39
	s_add_i32 s2, s2, s3
	s_mul_i32 s3, s23, s38
	s_add_i32 s3, s2, s3
	s_mul_i32 s2, s22, s38
	v_mov_b32_e32 v36, 0
	s_lshl_b64 s[36:37], s[2:3], 2
	s_barrier
	ds_read2_b32 v[1:2], v36 offset0:3 offset1:7
	s_add_u32 s22, s20, s36
	s_mul_hi_u32 s2, s26, s38
	s_mul_i32 s3, s26, s39
	s_addc_u32 s23, s21, s37
	s_add_i32 s2, s2, s3
	s_mul_i32 s3, s27, s38
	s_add_i32 s43, s2, s3
	s_mul_hi_u32 s2, s16, s38
	s_mul_i32 s3, s16, s39
	s_add_i32 s2, s2, s3
	s_mul_i32 s3, s17, s38
	s_add_i32 s17, s2, s3
	s_waitcnt lgkmcnt(0)
	v_cmp_gt_i32_e32 vcc, s10, v1
	v_cmp_gt_i32_e64 s[2:3], s28, v2
	s_and_b64 s[2:3], vcc, s[2:3]
	s_mul_i32 s34, s8, s9
	s_mul_i32 s42, s26, s38
	s_ashr_i32 s27, s14, 31
	s_mov_b32 s26, s14
	s_mul_i32 s16, s16, s38
	v_readfirstlane_b32 s8, v1
	s_andn2_b64 vcc, exec, s[2:3]
	s_add_i32 s40, s10, -1
	s_cbranch_vccnz .LBB58_223
; %bb.3:
	s_lshl_b32 s9, s10, 1
	s_lshl_b64 s[2:3], s[42:43], 2
	s_add_u32 s14, s24, s2
	s_addc_u32 s33, s25, s3
	s_lshl_b64 s[2:3], s[16:17], 3
	s_add_u32 s11, s12, s2
	s_addc_u32 s35, s13, s3
	s_lshl_b64 s[4:5], s[26:27], 3
	s_add_u32 s88, s11, s4
	s_mul_hi_i32 s45, s9, s38
	s_mul_i32 s44, s9, s38
	s_addc_u32 s89, s35, s5
	s_lshl_b64 s[50:51], s[44:45], 2
	s_add_u32 s90, s6, s50
	s_addc_u32 s91, s7, s51
	s_ashr_i32 s11, s10, 31
	s_ashr_i32 s45, s15, 31
	s_add_u32 s92, s20, s36
	s_addc_u32 s93, s21, s37
	s_add_u32 s94, s92, 4
	s_addc_u32 s95, s93, 0
	s_ashr_i32 s35, s34, 31
	s_lshl_b64 s[46:47], s[34:35], 2
	s_lshl_b64 s[48:49], s[10:11], 2
	s_add_u32 s9, s50, s48
	s_addc_u32 s11, s51, s49
	s_add_u32 s6, s6, s9
	s_addc_u32 s7, s7, s11
	s_add_u32 s6, s6, -8
	s_addc_u32 s7, s7, -1
                                        ; implicit-def: $vgpr60 : SGPR spill to VGPR lane
	v_ashrrev_i32_e32 v1, 31, v0
	v_writelane_b32 v60, s6, 0
	v_writelane_b32 v60, s7, 1
	s_add_u32 s6, s90, -4
	s_addc_u32 s7, s91, -1
	s_add_u32 s54, s14, -4
	s_addc_u32 s55, s33, -1
	;; [unrolled: 2-line block ×3, first 2 shown]
	s_add_u32 s2, s2, s4
	s_addc_u32 s3, s3, s5
	s_mov_b32 s44, s15
	v_lshlrev_b64 v[1:2], 3, v[0:1]
	s_add_u32 s2, s12, s2
	s_addc_u32 s3, s13, s3
	s_lshl_b64 s[56:57], s[44:45], 3
	s_lshl_b64 s[60:61], s[34:35], 3
	v_mov_b32_e32 v3, s3
	v_add_co_u32_e32 v1, vcc, s2, v1
	s_sub_u32 s35, 0, s56
	v_addc_co_u32_e32 v2, vcc, v3, v2, vcc
	s_subb_u32 s59, 0, s57
	v_add_co_u32_e32 v38, vcc, 4, v1
	s_mov_b32 s80, 0x667f3bcd
	s_add_u32 s50, s92, -4
	v_writelane_b32 v60, s6, 2
	v_mul_f32_e64 v37, s29, s29
	v_addc_co_u32_e32 v39, vcc, 0, v2, vcc
	v_mov_b32_e32 v40, 0x260
	s_mov_b32 s81, 0x3ff6a09e
	s_addc_u32 s51, s93, -1
	s_mov_b32 s52, 0xf800000
	s_mov_b32 s53, 0x4f800000
	v_cmp_gt_i32_e64 s[2:3], s10, v0
	s_mov_b32 s63, 0
	v_writelane_b32 v60, s7, 3
                                        ; implicit-def: $vgpr43
                                        ; implicit-def: $vgpr9_vgpr10
                                        ; implicit-def: $vgpr11_vgpr12
                                        ; implicit-def: $vgpr13_vgpr14
                                        ; implicit-def: $vgpr1_vgpr2
                                        ; implicit-def: $vgpr42
                                        ; implicit-def: $vgpr7_vgpr8
                                        ; implicit-def: $vgpr3_vgpr4
                                        ; implicit-def: $vgpr5_vgpr6
                                        ; implicit-def: $vgpr41
	s_branch .LBB58_7
.LBB58_4:                               ;   in Loop: Header=BB58_7 Depth=1
	s_or_b64 exec, exec, s[4:5]
.LBB58_5:                               ;   in Loop: Header=BB58_7 Depth=1
	s_waitcnt vmcnt(0)
	s_barrier
.LBB58_6:                               ;   in Loop: Header=BB58_7 Depth=1
	ds_read2_b32 v[15:16], v36 offset0:3 offset1:7
	s_waitcnt lgkmcnt(0)
	v_cmp_gt_i32_e32 vcc, s10, v15
	v_cmp_gt_i32_e64 s[4:5], s28, v16
	s_and_b64 s[4:5], vcc, s[4:5]
	s_andn2_b64 vcc, exec, s[4:5]
	v_readfirstlane_b32 s8, v15
	s_cbranch_vccnz .LBB58_223
.LBB58_7:                               ; =>This Loop Header: Depth=1
                                        ;     Child Loop BB58_15 Depth 2
                                        ;     Child Loop BB58_28 Depth 2
	;; [unrolled: 1-line block ×5, first 2 shown]
                                        ;       Child Loop BB58_61 Depth 3
                                        ;       Child Loop BB58_81 Depth 3
	;; [unrolled: 1-line block ×3, first 2 shown]
                                        ;         Child Loop BB58_129 Depth 4
                                        ;     Child Loop BB58_133 Depth 2
                                        ;       Child Loop BB58_139 Depth 3
                                        ;       Child Loop BB58_159 Depth 3
	;; [unrolled: 1-line block ×3, first 2 shown]
                                        ;         Child Loop BB58_207 Depth 4
                                        ;     Child Loop BB58_215 Depth 2
                                        ;     Child Loop BB58_222 Depth 2
	s_and_saveexec_b64 s[64:65], s[0:1]
	s_cbranch_execz .LBB58_31
; %bb.8:                                ;   in Loop: Header=BB58_7 Depth=1
	s_cmp_lt_i32 s8, 1
	s_cbranch_scc1 .LBB58_10
; %bb.9:                                ;   in Loop: Header=BB58_7 Depth=1
	s_mov_b32 s9, s63
	s_lshl_b64 s[4:5], s[8:9], 2
	s_add_u32 s4, s14, s4
	s_addc_u32 s5, s33, s5
	global_store_dword v36, v36, s[4:5] offset:-4
.LBB58_10:                              ;   in Loop: Header=BB58_7 Depth=1
	s_mov_b64 s[6:7], -1
	s_mov_b64 s[4:5], 0
	s_cmp_lt_i32 s8, s40
	s_mov_b64 s[66:67], 0
	s_cbranch_scc1 .LBB58_12
; %bb.11:                               ;   in Loop: Header=BB58_7 Depth=1
	s_ashr_i32 s9, s8, 31
	s_mov_b64 s[6:7], 0
	s_mov_b64 s[66:67], -1
.LBB58_12:                              ;   in Loop: Header=BB58_7 Depth=1
	s_andn2_b64 vcc, exec, s[6:7]
	s_cbranch_vccnz .LBB58_17
; %bb.13:                               ;   in Loop: Header=BB58_7 Depth=1
	s_ashr_i32 s9, s8, 31
	s_lshl_b64 s[4:5], s[8:9], 2
	s_add_u32 s74, s14, s4
	s_addc_u32 s75, s33, s5
	s_add_u32 s72, s94, s4
	s_addc_u32 s73, s95, s5
	s_mov_b64 s[76:77], s[8:9]
	s_branch .LBB58_15
.LBB58_14:                              ;   in Loop: Header=BB58_15 Depth=2
	s_andn2_b64 vcc, exec, s[4:5]
	s_cbranch_vccz .LBB58_18
.LBB58_15:                              ;   Parent Loop BB58_7 Depth=1
                                        ; =>  This Inner Loop Header: Depth=2
	global_load_dwordx2 v[9:10], v36, s[72:73] offset:-4
	global_load_dword v11, v36, s[74:75]
	s_mov_b64 s[68:69], s[74:75]
	s_mov_b64 s[70:71], s[76:77]
	s_mov_b64 s[78:79], -1
                                        ; implicit-def: $sgpr76_sgpr77
                                        ; implicit-def: $sgpr74_sgpr75
	s_waitcnt vmcnt(1)
	v_mul_f32_e64 v12, |v9|, s53
	v_cmp_lt_f32_e64 vcc, |v9|, s52
	v_mul_f32_e64 v13, |v10|, s53
	v_cndmask_b32_e64 v9, |v9|, v12, vcc
	v_cmp_lt_f32_e64 s[4:5], |v10|, s52
	v_sqrt_f32_e32 v12, v9
	v_cndmask_b32_e64 v10, |v10|, v13, s[4:5]
	v_sqrt_f32_e32 v13, v10
	v_add_u32_e32 v14, -1, v12
	v_fma_f32 v18, -v14, v12, v9
	v_add_u32_e32 v16, -1, v13
	v_add_u32_e32 v15, 1, v12
	v_fma_f32 v20, -v16, v13, v10
	v_cmp_ge_f32_e64 s[6:7], 0, v18
	v_add_u32_e32 v17, 1, v13
	v_fma_f32 v19, -v15, v12, v9
	v_cndmask_b32_e64 v12, v12, v14, s[6:7]
	v_cmp_ge_f32_e64 s[6:7], 0, v20
	v_fma_f32 v21, -v17, v13, v10
	v_cndmask_b32_e64 v13, v13, v16, s[6:7]
	v_cmp_lt_f32_e64 s[6:7], 0, v19
	v_cndmask_b32_e64 v12, v12, v15, s[6:7]
	v_cmp_lt_f32_e64 s[6:7], 0, v21
	v_cndmask_b32_e64 v13, v13, v17, s[6:7]
	v_mul_f32_e32 v14, 0x37800000, v12
	v_mul_f32_e32 v15, 0x37800000, v13
	v_cndmask_b32_e32 v12, v12, v14, vcc
	v_cmp_class_f32_e32 vcc, v9, v40
	v_cndmask_b32_e64 v13, v13, v15, s[4:5]
	v_cndmask_b32_e32 v9, v12, v9, vcc
	v_cmp_class_f32_e32 vcc, v10, v40
	v_cndmask_b32_e32 v10, v13, v10, vcc
	v_mul_f32_e32 v9, v9, v10
	v_mul_f32_e32 v9, s29, v9
	s_waitcnt vmcnt(0)
	v_cmp_nle_f32_e64 s[4:5], |v11|, v9
	s_and_b64 vcc, exec, s[4:5]
	s_mov_b64 s[4:5], -1
	s_cbranch_vccz .LBB58_14
; %bb.16:                               ;   in Loop: Header=BB58_15 Depth=2
	s_add_u32 s76, s70, 1
	s_addc_u32 s77, s71, 0
	s_add_u32 s74, s68, 4
	s_addc_u32 s75, s69, 0
	;; [unrolled: 2-line block ×3, first 2 shown]
	s_cmp_ge_i32 s76, s40
	s_mov_b64 s[78:79], 0
	s_cselect_b64 s[4:5], -1, 0
	s_branch .LBB58_14
.LBB58_17:                              ;   in Loop: Header=BB58_7 Depth=1
	s_mov_b32 s41, s8
	s_mov_b64 s[6:7], s[8:9]
	s_and_b64 vcc, exec, s[66:67]
	s_cbranch_vccnz .LBB58_21
	s_branch .LBB58_22
.LBB58_18:                              ;   in Loop: Header=BB58_7 Depth=1
	s_xor_b64 s[6:7], s[78:79], -1
	s_mov_b64 s[4:5], -1
	s_and_b64 vcc, exec, s[6:7]
                                        ; implicit-def: $sgpr6_sgpr7
	s_cbranch_vccz .LBB58_20
; %bb.19:                               ;   in Loop: Header=BB58_7 Depth=1
	s_ashr_i32 s41, s40, 31
	s_mov_b64 s[66:67], -1
	s_mov_b64 s[4:5], 0
	s_mov_b64 s[6:7], s[40:41]
.LBB58_20:                              ;   in Loop: Header=BB58_7 Depth=1
	v_mov_b32_e32 v9, s70
	v_mov_b32_e32 v11, s68
	;; [unrolled: 1-line block ×7, first 2 shown]
	s_mov_b32 s41, s40
	s_and_b64 vcc, exec, s[66:67]
	s_cbranch_vccz .LBB58_22
.LBB58_21:                              ;   in Loop: Header=BB58_7 Depth=1
	v_mov_b32_e32 v15, s41
	ds_write_b32 v36, v15 offset:4
.LBB58_22:                              ;   in Loop: Header=BB58_7 Depth=1
	v_mov_b32_e32 v16, s9
	v_mov_b32_e32 v18, s7
	s_andn2_b64 vcc, exec, s[4:5]
	v_mov_b32_e32 v15, s8
	v_mov_b32_e32 v17, s6
	;; [unrolled: 1-line block ×3, first 2 shown]
	s_cbranch_vccnz .LBB58_24
; %bb.23:                               ;   in Loop: Header=BB58_7 Depth=1
	v_mov_b32_e32 v16, v14
	v_mov_b32_e32 v18, v10
	;; [unrolled: 1-line block ×5, first 2 shown]
	ds_write_b32 v36, v43 offset:4
	global_store_dword v[11:12], v36, off
.LBB58_24:                              ;   in Loop: Header=BB58_7 Depth=1
	v_lshlrev_b64 v[17:18], 2, v[17:18]
	v_mov_b32_e32 v21, s23
	v_add_co_u32_e32 v20, vcc, s22, v17
	v_addc_co_u32_e32 v21, vcc, v21, v18, vcc
	v_lshlrev_b64 v[17:18], 2, v[15:16]
	v_mov_b32_e32 v15, s23
	v_add_co_u32_e32 v22, vcc, s22, v17
	v_addc_co_u32_e32 v23, vcc, v15, v18, vcc
	global_load_dword v15, v[20:21], off
	global_load_dword v16, v[22:23], off
	v_mov_b32_e32 v20, s8
	ds_write2_b32 v36, v20, v19 offset1:5
	ds_write_b32 v36, v19 offset:32
	v_add_u32_e32 v20, 1, v19
	v_mov_b32_e32 v21, s8
	ds_write2_b32 v36, v20, v21 offset0:3 offset1:4
	s_waitcnt vmcnt(0)
	v_cmp_lt_f32_e64 s[6:7], |v15|, |v16|
	s_and_saveexec_b64 s[4:5], s[6:7]
; %bb.25:                               ;   in Loop: Header=BB58_7 Depth=1
	v_mov_b32_e32 v16, s8
	ds_write2_b32 v36, v19, v16 offset1:5
; %bb.26:                               ;   in Loop: Header=BB58_7 Depth=1
	s_or_b64 exec, exec, s[4:5]
	v_and_b32_e32 v20, 0x7fffffff, v15
	v_cmp_lt_i32_e32 vcc, s8, v19
	s_and_saveexec_b64 s[4:5], vcc
	s_cbranch_execz .LBB58_30
; %bb.27:                               ;   in Loop: Header=BB58_7 Depth=1
	v_mov_b32_e32 v16, s93
	v_add_co_u32_e32 v15, vcc, s92, v17
	v_addc_co_u32_e32 v16, vcc, v16, v18, vcc
	v_mov_b32_e32 v21, s33
	v_add_co_u32_e32 v17, vcc, s14, v17
	v_addc_co_u32_e32 v18, vcc, v21, v18, vcc
	s_mov_b64 s[6:7], 0
.LBB58_28:                              ;   Parent Loop BB58_7 Depth=1
                                        ; =>  This Inner Loop Header: Depth=2
	global_load_dword v21, v[15:16], off
	global_load_dword v22, v[17:18], off
	v_add_co_u32_e32 v15, vcc, 4, v15
	v_addc_co_u32_e32 v16, vcc, 0, v16, vcc
	v_add_co_u32_e32 v17, vcc, 4, v17
	s_add_i32 s8, s8, 1
	v_addc_co_u32_e32 v18, vcc, 0, v18, vcc
	v_cmp_ge_i32_e32 vcc, s8, v19
	s_or_b64 s[6:7], vcc, s[6:7]
	s_waitcnt vmcnt(0)
	v_max3_f32 v20, v20, |v21|, |v22|
	s_andn2_b64 exec, exec, s[6:7]
	s_cbranch_execnz .LBB58_28
; %bb.29:                               ;   in Loop: Header=BB58_7 Depth=1
	s_or_b64 exec, exec, s[6:7]
.LBB58_30:                              ;   in Loop: Header=BB58_7 Depth=1
	s_or_b64 exec, exec, s[4:5]
	ds_write_b32 v36, v20 offset:24
.LBB58_31:                              ;   in Loop: Header=BB58_7 Depth=1
	s_or_b64 exec, exec, s[64:65]
	s_waitcnt lgkmcnt(0)
	s_barrier
	ds_read2_b32 v[15:16], v36 offset0:5 offset1:6
	ds_read_b32 v17, v36
	s_waitcnt lgkmcnt(1)
	v_cmp_eq_f32_e64 s[4:5], 0, v16
	s_waitcnt lgkmcnt(0)
	v_cmp_eq_u32_e32 vcc, v15, v17
	s_or_b64 s[4:5], vcc, s[4:5]
	s_and_b64 vcc, exec, s[4:5]
	s_cbranch_vccnz .LBB58_6
; %bb.32:                               ;   in Loop: Header=BB58_7 Depth=1
	v_cmp_nlt_f32_e32 vcc, s31, v16
	s_mov_b64 s[4:5], -1
	s_cbranch_vccz .LBB58_41
; %bb.33:                               ;   in Loop: Header=BB58_7 Depth=1
	v_cmp_ngt_f32_e32 vcc, s30, v16
	s_cbranch_vccnz .LBB58_40
; %bb.34:                               ;   in Loop: Header=BB58_7 Depth=1
	v_div_scale_f32 v15, s[4:5], s30, s30, v16
	v_div_scale_f32 v17, vcc, v16, s30, v16
	v_rcp_f32_e32 v18, v15
	v_fma_f32 v19, -v15, v18, 1.0
	v_fmac_f32_e32 v18, v19, v18
	v_mul_f32_e32 v19, v17, v18
	v_fma_f32 v20, -v15, v19, v17
	v_fmac_f32_e32 v19, v20, v18
	v_fma_f32 v15, -v15, v19, v17
	v_div_fmas_f32 v15, v15, v18, v19
	ds_read2_b32 v[17:18], v36 offset0:4 offset1:8
	v_div_fixup_f32 v15, v15, s30, v16
	s_and_saveexec_b64 s[4:5], s[0:1]
	s_cbranch_execz .LBB58_36
; %bb.35:                               ;   in Loop: Header=BB58_7 Depth=1
	s_waitcnt lgkmcnt(0)
	v_ashrrev_i32_e32 v20, 31, v18
	v_mov_b32_e32 v19, v18
	v_lshlrev_b64 v[19:20], 2, v[19:20]
	v_mov_b32_e32 v21, s23
	v_add_co_u32_e32 v19, vcc, s22, v19
	v_addc_co_u32_e32 v20, vcc, v21, v20, vcc
	global_load_dword v21, v[19:20], off
	s_waitcnt vmcnt(0)
	v_mul_f32_e32 v21, v15, v21
	global_store_dword v[19:20], v21, off
.LBB58_36:                              ;   in Loop: Header=BB58_7 Depth=1
	s_or_b64 exec, exec, s[4:5]
	s_waitcnt lgkmcnt(0)
	v_add_u32_e32 v19, v17, v0
	v_cmp_lt_i32_e32 vcc, v19, v18
	s_and_saveexec_b64 s[4:5], vcc
	s_cbranch_execz .LBB58_39
; %bb.37:                               ;   in Loop: Header=BB58_7 Depth=1
	v_ashrrev_i32_e32 v20, 31, v19
	v_lshlrev_b64 v[20:21], 2, v[19:20]
	s_mov_b64 s[6:7], 0
.LBB58_38:                              ;   Parent Loop BB58_7 Depth=1
                                        ; =>  This Inner Loop Header: Depth=2
	v_mov_b32_e32 v17, s23
	v_add_co_u32_e32 v22, vcc, s22, v20
	v_addc_co_u32_e32 v23, vcc, v17, v21, vcc
	global_load_dword v17, v[22:23], off
	v_mov_b32_e32 v25, s33
	v_add_co_u32_e32 v24, vcc, s14, v20
	v_addc_co_u32_e32 v25, vcc, v25, v21, vcc
	v_add_co_u32_e32 v20, vcc, s46, v20
	v_add_u32_e32 v19, s34, v19
	s_waitcnt vmcnt(0)
	v_mul_f32_e32 v17, v15, v17
	global_store_dword v[22:23], v17, off
	global_load_dword v17, v[24:25], off
	v_mov_b32_e32 v22, s47
	v_addc_co_u32_e32 v21, vcc, v21, v22, vcc
	v_cmp_ge_i32_e32 vcc, v19, v18
	s_or_b64 s[6:7], vcc, s[6:7]
	s_waitcnt vmcnt(0)
	v_mul_f32_e32 v17, v15, v17
	global_store_dword v[24:25], v17, off
	s_andn2_b64 exec, exec, s[6:7]
	s_cbranch_execnz .LBB58_38
.LBB58_39:                              ;   in Loop: Header=BB58_7 Depth=1
	s_or_b64 exec, exec, s[4:5]
.LBB58_40:                              ;   in Loop: Header=BB58_7 Depth=1
	s_mov_b64 s[4:5], 0
.LBB58_41:                              ;   in Loop: Header=BB58_7 Depth=1
	s_andn2_b64 vcc, exec, s[4:5]
	s_cbranch_vccnz .LBB58_48
; %bb.42:                               ;   in Loop: Header=BB58_7 Depth=1
	v_div_scale_f32 v15, s[4:5], s31, s31, v16
	v_div_scale_f32 v17, vcc, v16, s31, v16
	v_rcp_f32_e32 v18, v15
	v_fma_f32 v19, -v15, v18, 1.0
	v_fmac_f32_e32 v18, v19, v18
	v_mul_f32_e32 v19, v17, v18
	v_fma_f32 v20, -v15, v19, v17
	v_fmac_f32_e32 v19, v20, v18
	v_fma_f32 v15, -v15, v19, v17
	v_div_fmas_f32 v15, v15, v18, v19
	ds_read2_b32 v[17:18], v36 offset0:4 offset1:8
	v_div_fixup_f32 v19, v15, s31, v16
	s_and_saveexec_b64 s[4:5], s[0:1]
	s_cbranch_execz .LBB58_44
; %bb.43:                               ;   in Loop: Header=BB58_7 Depth=1
	s_waitcnt lgkmcnt(0)
	v_ashrrev_i32_e32 v16, 31, v18
	v_mov_b32_e32 v15, v18
	v_lshlrev_b64 v[15:16], 2, v[15:16]
	v_mov_b32_e32 v20, s23
	v_add_co_u32_e32 v15, vcc, s22, v15
	v_addc_co_u32_e32 v16, vcc, v20, v16, vcc
	global_load_dword v20, v[15:16], off
	s_waitcnt vmcnt(0)
	v_mul_f32_e32 v20, v19, v20
	global_store_dword v[15:16], v20, off
.LBB58_44:                              ;   in Loop: Header=BB58_7 Depth=1
	s_or_b64 exec, exec, s[4:5]
	s_waitcnt lgkmcnt(0)
	v_add_u32_e32 v15, v17, v0
	v_cmp_lt_i32_e32 vcc, v15, v18
	s_and_saveexec_b64 s[4:5], vcc
	s_cbranch_execz .LBB58_47
; %bb.45:                               ;   in Loop: Header=BB58_7 Depth=1
	v_ashrrev_i32_e32 v16, 31, v15
	v_lshlrev_b64 v[16:17], 2, v[15:16]
	s_mov_b64 s[6:7], 0
.LBB58_46:                              ;   Parent Loop BB58_7 Depth=1
                                        ; =>  This Inner Loop Header: Depth=2
	v_add_co_u32_e32 v20, vcc, s22, v16
	v_mov_b32_e32 v21, s23
	v_addc_co_u32_e32 v21, vcc, v21, v17, vcc
	global_load_dword v22, v[20:21], off
	v_add_u32_e32 v15, s34, v15
	s_waitcnt vmcnt(0)
	v_mul_f32_e32 v22, v19, v22
	global_store_dword v[20:21], v22, off
	v_add_co_u32_e32 v20, vcc, s14, v16
	v_mov_b32_e32 v21, s33
	v_addc_co_u32_e32 v21, vcc, v21, v17, vcc
	global_load_dword v22, v[20:21], off
	v_add_co_u32_e32 v16, vcc, s46, v16
	s_waitcnt vmcnt(0)
	v_mul_f32_e32 v22, v19, v22
	global_store_dword v[20:21], v22, off
	v_mov_b32_e32 v20, s47
	v_addc_co_u32_e32 v17, vcc, v17, v20, vcc
	v_cmp_ge_i32_e32 vcc, v15, v18
	s_or_b64 s[6:7], vcc, s[6:7]
	s_andn2_b64 exec, exec, s[6:7]
	s_cbranch_execnz .LBB58_46
.LBB58_47:                              ;   in Loop: Header=BB58_7 Depth=1
	s_or_b64 exec, exec, s[4:5]
.LBB58_48:                              ;   in Loop: Header=BB58_7 Depth=1
	s_waitcnt vmcnt(0)
	s_barrier
	ds_read2_b32 v[15:16], v36 offset1:5
	ds_read_b32 v18, v36 offset:28
	s_mov_b64 s[6:7], -1
                                        ; implicit-def: $vgpr21_vgpr22
                                        ; implicit-def: $vgpr19_vgpr20
	s_waitcnt lgkmcnt(1)
	v_mov_b32_e32 v17, v16
	s_waitcnt lgkmcnt(0)
	v_cmp_gt_i32_e64 s[4:5], s28, v18
	v_cmp_lt_i32_e32 vcc, v16, v15
	v_cndmask_b32_e64 v16, 0, 1, s[4:5]
	v_cmp_ne_u32_e64 s[4:5], 1, v16
                                        ; implicit-def: $vgpr16
	s_cbranch_vccnz .LBB58_51
; %bb.49:                               ;   in Loop: Header=BB58_7 Depth=1
	v_mov_b32_e32 v22, v6
	v_mov_b32_e32 v20, v4
	s_and_b64 vcc, exec, s[4:5]
	v_mov_b32_e32 v21, v5
	v_mov_b32_e32 v19, v3
	;; [unrolled: 1-line block ×6, first 2 shown]
	s_cbranch_vccz .LBB58_55
.LBB58_50:                              ;   in Loop: Header=BB58_7 Depth=1
	s_mov_b64 s[6:7], 0
.LBB58_51:                              ;   in Loop: Header=BB58_7 Depth=1
	s_andn2_b64 vcc, exec, s[6:7]
	s_cbranch_vccnz .LBB58_209
; %bb.52:                               ;   in Loop: Header=BB58_7 Depth=1
	s_and_b64 vcc, exec, s[4:5]
	s_cbranch_vccz .LBB58_133
	s_branch .LBB58_210
.LBB58_53:                              ;   in Loop: Header=BB58_55 Depth=2
	s_or_b64 exec, exec, s[8:9]
	s_waitcnt vmcnt(0)
	s_barrier
	ds_read_b32 v23, v36
.LBB58_54:                              ;   in Loop: Header=BB58_55 Depth=2
	ds_read2_b32 v[30:31], v36 offset0:5 offset1:7
	s_waitcnt lgkmcnt(0)
	v_cmp_le_i32_e32 vcc, v23, v30
	v_cmp_gt_i32_e64 s[6:7], s28, v31
	s_and_b64 s[6:7], vcc, s[6:7]
	s_andn2_b64 vcc, exec, s[6:7]
	s_cbranch_vccnz .LBB58_50
.LBB58_55:                              ;   Parent Loop BB58_7 Depth=1
                                        ; =>  This Loop Header: Depth=2
                                        ;       Child Loop BB58_61 Depth 3
                                        ;       Child Loop BB58_81 Depth 3
	;; [unrolled: 1-line block ×3, first 2 shown]
                                        ;         Child Loop BB58_129 Depth 4
	s_and_saveexec_b64 s[64:65], s[0:1]
	s_cbranch_execz .LBB58_124
; %bb.56:                               ;   in Loop: Header=BB58_55 Depth=2
	v_cmp_lt_i32_e32 vcc, v23, v30
	s_mov_b64 s[6:7], 0
	s_cbranch_vccnz .LBB58_58
; %bb.57:                               ;   in Loop: Header=BB58_55 Depth=2
	v_ashrrev_i32_e32 v24, 31, v23
	v_mov_b32_e32 v25, v24
	s_mov_b64 s[8:9], -1
	v_mov_b32_e32 v24, v23
	v_mov_b32_e32 v26, v23
	s_cbranch_execz .LBB58_59
	s_branch .LBB58_64
.LBB58_58:                              ;   in Loop: Header=BB58_55 Depth=2
                                        ; implicit-def: $vgpr24_vgpr25
	s_mov_b64 s[8:9], 0
	v_mov_b32_e32 v26, v23
.LBB58_59:                              ;   in Loop: Header=BB58_55 Depth=2
	v_ashrrev_i32_e32 v24, 31, v23
	v_lshlrev_b64 v[19:20], 2, v[23:24]
	v_mov_b32_e32 v16, s33
	v_add_co_u32_e32 v25, vcc, s14, v19
	v_addc_co_u32_e32 v26, vcc, v16, v20, vcc
	v_mov_b32_e32 v16, s93
	v_add_co_u32_e32 v21, vcc, s92, v19
	v_addc_co_u32_e32 v22, vcc, v16, v20, vcc
	v_mov_b32_e32 v27, v23
	s_branch .LBB58_61
.LBB58_60:                              ;   in Loop: Header=BB58_61 Depth=3
	v_add_co_u32_e32 v25, vcc, 4, v19
	v_addc_co_u32_e32 v26, vcc, 0, v20, vcc
	v_add_u32_e32 v27, 1, v16
	v_add_co_u32_e32 v21, vcc, 4, v21
	v_addc_co_u32_e32 v22, vcc, 0, v22, vcc
	s_mov_b64 s[6:7], 0
	v_cmp_ge_i32_e64 s[8:9], v27, v30
	s_andn2_b64 vcc, exec, s[8:9]
	s_cbranch_vccz .LBB58_63
.LBB58_61:                              ;   Parent Loop BB58_7 Depth=1
                                        ;     Parent Loop BB58_55 Depth=2
                                        ; =>    This Inner Loop Header: Depth=3
	v_mov_b32_e32 v19, v25
	v_mov_b32_e32 v20, v26
	global_load_dwordx2 v[25:26], v[21:22], off
	global_load_dword v28, v[19:20], off
	v_mov_b32_e32 v16, v27
	s_waitcnt vmcnt(1)
	v_mul_f32_e32 v25, v25, v26
	s_waitcnt vmcnt(0)
	v_mul_f32_e32 v26, v28, v28
	v_mul_f32_e64 v25, v37, |v25|
	v_cmp_le_f32_e64 s[6:7], |v26|, v25
	s_and_b64 vcc, exec, s[6:7]
	s_cbranch_vccz .LBB58_60
; %bb.62:                               ;   in Loop: Header=BB58_55 Depth=2
	s_mov_b64 s[6:7], -1
                                        ; implicit-def: $vgpr27
                                        ; implicit-def: $vgpr25_vgpr26
                                        ; implicit-def: $vgpr21_vgpr22
.LBB58_63:                              ;   in Loop: Header=BB58_55 Depth=2
	v_mov_b32_e32 v21, v23
	v_mov_b32_e32 v22, v24
	;; [unrolled: 1-line block ×3, first 2 shown]
	s_xor_b64 s[8:9], s[6:7], -1
	s_mov_b64 s[6:7], -1
	v_mov_b32_e32 v26, v30
	v_mov_b32_e32 v24, v23
.LBB58_64:                              ;   in Loop: Header=BB58_55 Depth=2
	s_and_b64 vcc, exec, s[8:9]
	s_cbranch_vccnz .LBB58_93
; %bb.65:                               ;   in Loop: Header=BB58_55 Depth=2
	s_andn2_b64 vcc, exec, s[6:7]
	s_cbranch_vccnz .LBB58_67
.LBB58_66:                              ;   in Loop: Header=BB58_55 Depth=2
	v_mov_b32_e32 v25, v22
	v_mov_b32_e32 v24, v21
	v_mov_b32_e32 v26, v16
	ds_write2_b32 v36, v16, v23 offset0:1 offset1:4
	global_store_dword v[19:20], v36, off
.LBB58_67:                              ;   in Loop: Header=BB58_55 Depth=2
	v_lshlrev_b64 v[27:28], 2, v[24:25]
	v_mov_b32_e32 v25, s23
	v_add_co_u32_e32 v24, vcc, s22, v27
	v_addc_co_u32_e32 v25, vcc, v25, v28, vcc
	global_load_dword v35, v[24:25], off
	v_cmp_ne_u32_e32 vcc, v26, v23
	v_add_u32_e32 v29, 1, v23
	s_waitcnt vmcnt(0)
	ds_write_b32 v36, v35 offset:8
	s_and_saveexec_b64 s[6:7], vcc
	s_xor_b64 s[66:67], exec, s[6:7]
	s_cbranch_execz .LBB58_121
; %bb.68:                               ;   in Loop: Header=BB58_55 Depth=2
	v_cmp_ne_u32_e32 vcc, v26, v29
	s_and_saveexec_b64 s[6:7], vcc
	s_xor_b64 s[8:9], exec, s[6:7]
	s_cbranch_execz .LBB58_97
; %bb.69:                               ;   in Loop: Header=BB58_55 Depth=2
	v_mov_b32_e32 v30, s33
	v_add_co_u32_e32 v29, vcc, s14, v27
	v_addc_co_u32_e32 v30, vcc, v30, v28, vcc
	global_load_dword v32, v[24:25], off offset:4
	global_load_dword v44, v[29:30], off
	v_ashrrev_i32_e32 v27, 31, v26
	v_mov_b32_e32 v48, s23
	v_add_u32_e32 v31, 1, v31
	ds_write2_b32 v36, v36, v31 offset0:2 offset1:7
	s_waitcnt vmcnt(1)
	v_sub_f32_e32 v34, v32, v35
	s_waitcnt vmcnt(0)
	v_add_f32_e32 v46, v44, v44
	v_div_scale_f32 v28, s[6:7], v46, v46, v34
	v_div_scale_f32 v45, vcc, v34, v46, v34
	v_lshlrev_b64 v[32:33], 2, v[26:27]
	v_rcp_f32_e32 v47, v28
	v_fma_f32 v27, -v28, v47, 1.0
	v_fmac_f32_e32 v47, v27, v47
	v_mul_f32_e32 v27, v45, v47
	v_fma_f32 v49, -v28, v27, v45
	v_fmac_f32_e32 v27, v49, v47
	v_fma_f32 v28, -v28, v27, v45
	v_div_fmas_f32 v47, v28, v47, v27
	v_add_co_u32_e32 v27, vcc, s22, v32
	v_addc_co_u32_e32 v28, vcc, v48, v33, vcc
	global_load_dword v45, v[27:28], off
	v_div_fixup_f32 v34, v47, v46, v34
	v_fma_f32 v46, v34, v34, 1.0
	v_mul_f32_e32 v47, 0x4f800000, v46
	v_cmp_gt_f32_e32 vcc, s52, v46
	v_cndmask_b32_e32 v46, v46, v47, vcc
	v_sqrt_f32_e32 v47, v46
	v_add_u32_e32 v48, -1, v47
	v_add_u32_e32 v49, 1, v47
	v_fma_f32 v50, -v48, v47, v46
	v_fma_f32 v51, -v49, v47, v46
	v_cmp_ge_f32_e64 s[6:7], 0, v50
	v_cndmask_b32_e64 v47, v47, v48, s[6:7]
	v_cmp_lt_f32_e64 s[6:7], 0, v51
	v_cndmask_b32_e64 v47, v47, v49, s[6:7]
	v_mul_f32_e32 v48, 0x37800000, v47
	v_cndmask_b32_e32 v47, v47, v48, vcc
	v_cmp_class_f32_e32 vcc, v46, v40
	v_cndmask_b32_e32 v46, v47, v46, vcc
	v_cmp_nle_f32_e32 vcc, 0, v34
	v_cndmask_b32_e64 v46, |v46|, -|v46|, vcc
	v_add_f32_e32 v46, v34, v46
	v_div_scale_f32 v34, s[6:7], v46, v46, v44
	v_div_scale_f32 v47, vcc, v44, v46, v44
	v_rcp_f32_e32 v48, v34
	v_fma_f32 v49, -v34, v48, 1.0
	v_fmac_f32_e32 v48, v49, v48
	v_mul_f32_e32 v49, v47, v48
	v_fma_f32 v50, -v34, v49, v47
	v_fmac_f32_e32 v49, v50, v48
	v_fma_f32 v34, -v34, v49, v47
	v_div_fmas_f32 v47, v34, v48, v49
	v_mov_b32_e32 v34, 0
	v_cmp_gt_i32_e32 vcc, v26, v23
	v_div_fixup_f32 v44, v47, v46, v44
	s_waitcnt vmcnt(0)
	v_sub_f32_e32 v31, v45, v35
	v_add_f32_e32 v44, v31, v44
	s_and_saveexec_b64 s[68:69], vcc
	s_cbranch_execz .LBB58_96
; %bb.70:                               ;   in Loop: Header=BB58_55 Depth=2
	v_mov_b32_e32 v31, s33
	v_add_co_u32_e32 v34, vcc, s14, v32
	v_addc_co_u32_e32 v35, vcc, v31, v33, vcc
	global_load_dword v46, v[34:35], off offset:-4
	v_mov_b32_e32 v47, 0
	v_mov_b32_e32 v35, 1.0
	s_waitcnt vmcnt(0)
	v_cmp_neq_f32_e32 vcc, 0, v46
	s_and_saveexec_b64 s[70:71], vcc
	s_cbranch_execz .LBB58_78
; %bb.71:                               ;   in Loop: Header=BB58_55 Depth=2
	v_mov_b32_e32 v35, 0
	v_cmp_neq_f32_e32 vcc, 0, v44
	v_mov_b32_e32 v47, 1.0
	s_and_saveexec_b64 s[72:73], vcc
	s_cbranch_execz .LBB58_77
; %bb.72:                               ;   in Loop: Header=BB58_55 Depth=2
	v_cmp_ngt_f32_e64 s[6:7], |v46|, |v44|
                                        ; implicit-def: $vgpr47
                                        ; implicit-def: $vgpr35
	s_and_saveexec_b64 s[74:75], s[6:7]
	s_xor_b64 s[74:75], exec, s[74:75]
	s_cbranch_execz .LBB58_74
; %bb.73:                               ;   in Loop: Header=BB58_55 Depth=2
	v_div_scale_f32 v31, s[6:7], v44, v44, -v46
	v_div_scale_f32 v34, vcc, -v46, v44, -v46
	v_rcp_f32_e32 v35, v31
	v_fma_f32 v47, -v31, v35, 1.0
	v_fmac_f32_e32 v35, v47, v35
	v_mul_f32_e32 v47, v34, v35
	v_fma_f32 v48, -v31, v47, v34
	v_fmac_f32_e32 v47, v48, v35
	v_fma_f32 v31, -v31, v47, v34
	v_div_fmas_f32 v31, v31, v35, v47
	v_div_fixup_f32 v31, v31, v44, -v46
	v_fma_f32 v34, v31, v31, 1.0
	v_mul_f32_e32 v35, 0x4f800000, v34
	v_cmp_gt_f32_e32 vcc, s52, v34
	v_cndmask_b32_e32 v34, v34, v35, vcc
	v_sqrt_f32_e32 v35, v34
	v_add_u32_e32 v44, -1, v35
	v_add_u32_e32 v47, 1, v35
	v_fma_f32 v48, -v44, v35, v34
	v_fma_f32 v49, -v47, v35, v34
	v_cmp_ge_f32_e64 s[6:7], 0, v48
	v_cndmask_b32_e64 v35, v35, v44, s[6:7]
	v_cmp_lt_f32_e64 s[6:7], 0, v49
	v_cndmask_b32_e64 v35, v35, v47, s[6:7]
	v_mul_f32_e32 v44, 0x37800000, v35
	v_cndmask_b32_e32 v35, v35, v44, vcc
	v_cmp_class_f32_e32 vcc, v34, v40
	v_cndmask_b32_e32 v34, v35, v34, vcc
	v_div_scale_f32 v35, s[6:7], v34, v34, 1.0
	v_div_scale_f32 v44, vcc, 1.0, v34, 1.0
	v_rcp_f32_e32 v47, v35
	v_fma_f32 v48, -v35, v47, 1.0
	v_fmac_f32_e32 v47, v48, v47
	v_mul_f32_e32 v48, v44, v47
	v_fma_f32 v49, -v35, v48, v44
	v_fmac_f32_e32 v48, v49, v47
	v_fma_f32 v35, -v35, v48, v44
	v_div_fmas_f32 v35, v35, v47, v48
                                        ; implicit-def: $vgpr44
	v_div_fixup_f32 v35, v35, v34, 1.0
	v_mul_f32_e32 v47, v31, v35
.LBB58_74:                              ;   in Loop: Header=BB58_55 Depth=2
	s_andn2_saveexec_b64 s[74:75], s[74:75]
	s_cbranch_execz .LBB58_76
; %bb.75:                               ;   in Loop: Header=BB58_55 Depth=2
	v_div_scale_f32 v31, s[6:7], v46, v46, -v44
	v_div_scale_f32 v34, vcc, -v44, v46, -v44
	v_rcp_f32_e32 v35, v31
	v_fma_f32 v47, -v31, v35, 1.0
	v_fmac_f32_e32 v35, v47, v35
	v_mul_f32_e32 v47, v34, v35
	v_fma_f32 v48, -v31, v47, v34
	v_fmac_f32_e32 v47, v48, v35
	v_fma_f32 v31, -v31, v47, v34
	v_div_fmas_f32 v31, v31, v35, v47
	v_div_fixup_f32 v31, v31, v46, -v44
	v_fma_f32 v34, v31, v31, 1.0
	v_mul_f32_e32 v35, 0x4f800000, v34
	v_cmp_gt_f32_e32 vcc, s52, v34
	v_cndmask_b32_e32 v34, v34, v35, vcc
	v_sqrt_f32_e32 v35, v34
	v_add_u32_e32 v44, -1, v35
	v_add_u32_e32 v47, 1, v35
	v_fma_f32 v48, -v44, v35, v34
	v_fma_f32 v49, -v47, v35, v34
	v_cmp_ge_f32_e64 s[6:7], 0, v48
	v_cndmask_b32_e64 v35, v35, v44, s[6:7]
	v_cmp_lt_f32_e64 s[6:7], 0, v49
	v_cndmask_b32_e64 v35, v35, v47, s[6:7]
	v_mul_f32_e32 v44, 0x37800000, v35
	v_cndmask_b32_e32 v35, v35, v44, vcc
	v_cmp_class_f32_e32 vcc, v34, v40
	v_cndmask_b32_e32 v34, v35, v34, vcc
	v_div_scale_f32 v35, s[6:7], v34, v34, 1.0
	v_div_scale_f32 v44, vcc, 1.0, v34, 1.0
	v_rcp_f32_e32 v47, v35
	v_fma_f32 v48, -v35, v47, 1.0
	v_fmac_f32_e32 v47, v48, v47
	v_mul_f32_e32 v48, v44, v47
	v_fma_f32 v49, -v35, v48, v44
	v_fmac_f32_e32 v48, v49, v47
	v_fma_f32 v35, -v35, v48, v44
	v_div_fmas_f32 v35, v35, v47, v48
	v_div_fixup_f32 v47, v35, v34, 1.0
	v_mul_f32_e32 v35, v31, v47
.LBB58_76:                              ;   in Loop: Header=BB58_55 Depth=2
	s_or_b64 exec, exec, s[74:75]
.LBB58_77:                              ;   in Loop: Header=BB58_55 Depth=2
	s_or_b64 exec, exec, s[72:73]
.LBB58_78:                              ;   in Loop: Header=BB58_55 Depth=2
	s_or_b64 exec, exec, s[70:71]
	global_load_dword v34, v[27:28], off offset:-4
	v_mov_b32_e32 v48, s91
	v_add_co_u32_e32 v32, vcc, s90, v32
	v_addc_co_u32_e32 v33, vcc, v48, v33, vcc
	v_add_co_u32_e32 v48, vcc, -4, v32
	v_addc_co_u32_e32 v50, vcc, -1, v33, vcc
	v_add_f32_e32 v44, v35, v35
	v_mov_b32_e32 v49, s49
	v_add_co_u32_e32 v48, vcc, s48, v48
	v_add_u32_e32 v31, -1, v26
	v_addc_co_u32_e32 v49, vcc, v50, v49, vcc
	v_cmp_gt_i32_e32 vcc, v31, v23
	s_waitcnt vmcnt(0)
	v_sub_f32_e32 v34, v34, v45
	v_mul_f32_e32 v34, v47, v34
	v_fma_f32 v44, v46, v44, -v34
	v_mul_f32_e64 v34, v44, -v47
	v_fma_f32 v45, v44, -v47, v45
	v_fma_f32 v44, v35, v44, -v46
	ds_write_b32 v36, v34 offset:8
	global_store_dword v[27:28], v45, off
	global_store_dword v[32:33], v35, off offset:-4
	global_store_dword v[48:49], v47, off offset:-4
	s_and_saveexec_b64 s[70:71], vcc
	s_cbranch_execz .LBB58_95
; %bb.79:                               ;   in Loop: Header=BB58_55 Depth=2
	v_ashrrev_i32_e32 v32, 31, v31
	v_lshlrev_b64 v[27:28], 2, v[31:32]
	v_readlane_b32 s78, v60, 2
	v_readlane_b32 s80, v60, 0
	v_xor_b32_e32 v45, 0x80000000, v47
	s_mov_b32 s41, -1
	s_mov_b64 s[72:73], 0
	s_mov_b64 s[74:75], s[54:55]
	;; [unrolled: 1-line block ×3, first 2 shown]
	v_readlane_b32 s79, v60, 3
	v_readlane_b32 s81, v60, 1
	s_branch .LBB58_81
.LBB58_80:                              ;   in Loop: Header=BB58_81 Depth=3
	v_mov_b32_e32 v32, s77
	v_add_co_u32_e32 v31, vcc, s76, v27
	v_addc_co_u32_e32 v32, vcc, v32, v28, vcc
	global_load_dwordx2 v[48:49], v[31:32], off offset:-4
	v_add_co_u32_e32 v50, vcc, s80, v27
	s_add_u32 s80, s80, -4
	v_mov_b32_e32 v51, s81
	s_addc_u32 s81, s81, -1
	v_add_co_u32_e64 v52, s[6:7], s78, v27
	s_add_u32 s78, s78, -4
	v_mov_b32_e32 v44, s79
	s_addc_u32 s79, s79, -1
	s_add_i32 s41, s41, -1
	v_addc_co_u32_e64 v53, s[6:7], v44, v28, s[6:7]
	v_addc_co_u32_e32 v51, vcc, v51, v28, vcc
	v_add_u32_e32 v44, s41, v26
	s_add_u32 s76, s76, -4
	v_cmp_le_i32_e32 vcc, v44, v23
	s_addc_u32 s77, s77, -1
	v_mul_f32_e32 v33, v35, v33
	v_add_f32_e32 v35, v46, v46
	s_add_u32 s74, s74, -4
	s_addc_u32 s75, s75, -1
	v_xor_b32_e32 v45, 0x80000000, v47
	s_or_b64 s[72:73], vcc, s[72:73]
	s_waitcnt vmcnt(0)
	v_sub_f32_e32 v44, v49, v34
	v_sub_f32_e32 v34, v48, v44
	v_mul_f32_e32 v34, v47, v34
	v_fma_f32 v35, v33, v35, -v34
	v_mul_f32_e64 v34, v35, -v47
	v_fma_f32 v48, v35, -v47, v44
	v_fma_f32 v44, v46, v35, -v33
	v_mov_b32_e32 v35, v46
	global_store_dword v[31:32], v48, off
	global_store_dword v[52:53], v46, off
	;; [unrolled: 1-line block ×3, first 2 shown]
	s_andn2_b64 exec, exec, s[72:73]
	s_cbranch_execz .LBB58_94
.LBB58_81:                              ;   Parent Loop BB58_7 Depth=1
                                        ;     Parent Loop BB58_55 Depth=2
                                        ; =>    This Inner Loop Header: Depth=3
	v_mov_b32_e32 v32, s75
	v_add_co_u32_e32 v31, vcc, s74, v27
	v_addc_co_u32_e32 v32, vcc, v32, v28, vcc
	global_load_dword v33, v[31:32], off
	v_mov_b32_e32 v47, 0
	v_mov_b32_e32 v46, 1.0
	s_waitcnt vmcnt(0)
	v_mul_f32_e32 v45, v45, v33
	v_cmp_neq_f32_e32 vcc, 0, v45
	s_and_saveexec_b64 s[82:83], vcc
	s_cbranch_execz .LBB58_91
; %bb.82:                               ;   in Loop: Header=BB58_81 Depth=3
	v_cmp_neq_f32_e32 vcc, 0, v44
	v_xor_b32_e32 v48, 0x80000000, v45
                                        ; implicit-def: $vgpr47
                                        ; implicit-def: $vgpr46
	s_and_saveexec_b64 s[6:7], vcc
	s_xor_b64 s[84:85], exec, s[6:7]
	s_cbranch_execz .LBB58_88
; %bb.83:                               ;   in Loop: Header=BB58_81 Depth=3
	v_cmp_ngt_f32_e64 s[6:7], |v45|, |v44|
                                        ; implicit-def: $vgpr47
                                        ; implicit-def: $vgpr46
	s_and_saveexec_b64 s[86:87], s[6:7]
	s_xor_b64 s[86:87], exec, s[86:87]
	s_cbranch_execz .LBB58_85
; %bb.84:                               ;   in Loop: Header=BB58_81 Depth=3
	v_div_scale_f32 v46, s[6:7], v44, v44, -v45
	v_div_scale_f32 v47, vcc, -v45, v44, -v45
	v_rcp_f32_e32 v48, v46
	v_fma_f32 v49, -v46, v48, 1.0
	v_fmac_f32_e32 v48, v49, v48
	v_mul_f32_e32 v49, v47, v48
	v_fma_f32 v50, -v46, v49, v47
	v_fmac_f32_e32 v49, v50, v48
	v_fma_f32 v46, -v46, v49, v47
	v_div_fmas_f32 v46, v46, v48, v49
	v_div_fixup_f32 v47, v46, v44, -v45
	v_fma_f32 v46, v47, v47, 1.0
	v_mul_f32_e32 v48, 0x4f800000, v46
	v_cmp_gt_f32_e32 vcc, s52, v46
	v_cndmask_b32_e32 v46, v46, v48, vcc
	v_sqrt_f32_e32 v48, v46
	v_add_u32_e32 v49, -1, v48
	v_add_u32_e32 v50, 1, v48
	v_fma_f32 v51, -v49, v48, v46
	v_fma_f32 v52, -v50, v48, v46
	v_cmp_ge_f32_e64 s[6:7], 0, v51
	v_cndmask_b32_e64 v48, v48, v49, s[6:7]
	v_cmp_lt_f32_e64 s[6:7], 0, v52
	v_cndmask_b32_e64 v48, v48, v50, s[6:7]
	v_mul_f32_e32 v49, 0x37800000, v48
	v_cndmask_b32_e32 v48, v48, v49, vcc
	v_cmp_class_f32_e32 vcc, v46, v40
	v_cndmask_b32_e32 v46, v48, v46, vcc
	v_div_scale_f32 v48, s[6:7], v46, v46, 1.0
	v_div_scale_f32 v49, vcc, 1.0, v46, 1.0
	v_rcp_f32_e32 v50, v48
	v_fma_f32 v51, -v48, v50, 1.0
	v_fmac_f32_e32 v50, v51, v50
	v_mul_f32_e32 v51, v49, v50
	v_fma_f32 v52, -v48, v51, v49
	v_fmac_f32_e32 v51, v52, v50
	v_fma_f32 v48, -v48, v51, v49
	v_div_fmas_f32 v48, v48, v50, v51
	v_div_fixup_f32 v46, v48, v46, 1.0
	v_mul_f32_e32 v47, v47, v46
.LBB58_85:                              ;   in Loop: Header=BB58_81 Depth=3
	s_andn2_saveexec_b64 s[86:87], s[86:87]
	s_cbranch_execz .LBB58_87
; %bb.86:                               ;   in Loop: Header=BB58_81 Depth=3
	v_div_scale_f32 v46, s[6:7], v45, v45, -v44
	v_div_scale_f32 v47, vcc, -v44, v45, -v44
	v_rcp_f32_e32 v48, v46
	v_fma_f32 v49, -v46, v48, 1.0
	v_fmac_f32_e32 v48, v49, v48
	v_mul_f32_e32 v49, v47, v48
	v_fma_f32 v50, -v46, v49, v47
	v_fmac_f32_e32 v49, v50, v48
	v_fma_f32 v46, -v46, v49, v47
	v_div_fmas_f32 v46, v46, v48, v49
	v_div_fixup_f32 v46, v46, v45, -v44
	v_fma_f32 v47, v46, v46, 1.0
	v_mul_f32_e32 v48, 0x4f800000, v47
	v_cmp_gt_f32_e32 vcc, s52, v47
	v_cndmask_b32_e32 v47, v47, v48, vcc
	v_sqrt_f32_e32 v48, v47
	v_add_u32_e32 v49, -1, v48
	v_add_u32_e32 v50, 1, v48
	v_fma_f32 v51, -v49, v48, v47
	v_fma_f32 v52, -v50, v48, v47
	v_cmp_ge_f32_e64 s[6:7], 0, v51
	v_cndmask_b32_e64 v48, v48, v49, s[6:7]
	v_cmp_lt_f32_e64 s[6:7], 0, v52
	v_cndmask_b32_e64 v48, v48, v50, s[6:7]
	v_mul_f32_e32 v49, 0x37800000, v48
	v_cndmask_b32_e32 v48, v48, v49, vcc
	v_cmp_class_f32_e32 vcc, v47, v40
	v_cndmask_b32_e32 v47, v48, v47, vcc
	v_div_scale_f32 v48, s[6:7], v47, v47, 1.0
	v_div_scale_f32 v49, vcc, 1.0, v47, 1.0
	v_rcp_f32_e32 v50, v48
	v_fma_f32 v51, -v48, v50, 1.0
	v_fmac_f32_e32 v50, v51, v50
	v_mul_f32_e32 v51, v49, v50
	v_fma_f32 v52, -v48, v51, v49
	v_fmac_f32_e32 v51, v52, v50
	v_fma_f32 v48, -v48, v51, v49
	v_div_fmas_f32 v48, v48, v50, v51
	v_div_fixup_f32 v47, v48, v47, 1.0
	v_mul_f32_e32 v46, v46, v47
.LBB58_87:                              ;   in Loop: Header=BB58_81 Depth=3
	s_or_b64 exec, exec, s[86:87]
	v_mul_f32_e32 v45, v45, v47
	v_fma_f32 v48, v44, v46, -v45
.LBB58_88:                              ;   in Loop: Header=BB58_81 Depth=3
	s_andn2_saveexec_b64 s[6:7], s[84:85]
; %bb.89:                               ;   in Loop: Header=BB58_81 Depth=3
	v_mov_b32_e32 v46, 0
	v_mov_b32_e32 v47, 1.0
; %bb.90:                               ;   in Loop: Header=BB58_81 Depth=3
	s_or_b64 exec, exec, s[6:7]
	v_mov_b32_e32 v44, v48
.LBB58_91:                              ;   in Loop: Header=BB58_81 Depth=3
	s_or_b64 exec, exec, s[82:83]
	s_cmp_eq_u32 s41, 0
	s_cbranch_scc1 .LBB58_80
; %bb.92:                               ;   in Loop: Header=BB58_81 Depth=3
	global_store_dword v[31:32], v44, off offset:4
	s_branch .LBB58_80
.LBB58_93:                              ;   in Loop: Header=BB58_55 Depth=2
	ds_write2_b32 v36, v26, v23 offset0:1 offset1:4
	s_cbranch_execz .LBB58_66
	s_branch .LBB58_67
.LBB58_94:                              ;   in Loop: Header=BB58_55 Depth=2
	s_or_b64 exec, exec, s[72:73]
	s_mov_b32 s80, 0x667f3bcd
	s_mov_b32 s81, 0x3ff6a09e
	ds_write_b32 v36, v34 offset:8
.LBB58_95:                              ;   in Loop: Header=BB58_55 Depth=2
	s_or_b64 exec, exec, s[70:71]
	global_load_dword v35, v[24:25], off
.LBB58_96:                              ;   in Loop: Header=BB58_55 Depth=2
	s_or_b64 exec, exec, s[68:69]
	s_waitcnt vmcnt(0)
	v_sub_f32_e32 v23, v35, v34
	global_store_dword v[24:25], v23, off
	global_store_dword v[29:30], v44, off
                                        ; implicit-def: $vgpr27_vgpr28
                                        ; implicit-def: $vgpr24_vgpr25
                                        ; implicit-def: $vgpr23
                                        ; implicit-def: $vgpr35
.LBB58_97:                              ;   in Loop: Header=BB58_55 Depth=2
	s_andn2_saveexec_b64 s[68:69], s[8:9]
	s_cbranch_execz .LBB58_130
; %bb.98:                               ;   in Loop: Header=BB58_55 Depth=2
	v_mov_b32_e32 v26, s33
	v_add_co_u32_e32 v29, vcc, s14, v27
	v_addc_co_u32_e32 v30, vcc, v26, v28, vcc
	global_load_dword v31, v[24:25], off offset:4
	global_load_dword v44, v[29:30], off
                                        ; implicit-def: $vgpr34
	s_waitcnt vmcnt(1)
	v_sub_f32_e32 v33, v35, v31
	s_waitcnt vmcnt(0)
	v_add_f32_e32 v26, v44, v44
	v_and_b32_e32 v32, 0x7fffffff, v26
	v_cmp_ngt_f32_e64 s[6:7], |v33|, |v26|
	s_and_saveexec_b64 s[8:9], s[6:7]
	s_xor_b64 s[8:9], exec, s[8:9]
	s_cbranch_execz .LBB58_104
; %bb.99:                               ;   in Loop: Header=BB58_55 Depth=2
	v_cmp_nlt_f32_e64 s[6:7], |v33|, |v26|
                                        ; implicit-def: $vgpr34
	s_and_saveexec_b64 s[70:71], s[6:7]
	s_xor_b64 s[6:7], exec, s[70:71]
	s_cbranch_execz .LBB58_101
; %bb.100:                              ;   in Loop: Header=BB58_55 Depth=2
	v_cvt_f64_f32_e32 v[45:46], v32
                                        ; implicit-def: $vgpr32
	v_mul_f64 v[45:46], v[45:46], s[80:81]
	v_cvt_f32_f64_e32 v34, v[45:46]
.LBB58_101:                             ;   in Loop: Header=BB58_55 Depth=2
	s_andn2_saveexec_b64 s[70:71], s[6:7]
	s_cbranch_execz .LBB58_103
; %bb.102:                              ;   in Loop: Header=BB58_55 Depth=2
	v_and_b32_e32 v34, 0x7fffffff, v33
	v_div_scale_f32 v45, s[6:7], v32, v32, v34
	v_div_scale_f32 v32, vcc, v34, v32, v34
	v_rcp_f32_e32 v46, v45
	v_fma_f32 v47, -v45, v46, 1.0
	v_fmac_f32_e32 v46, v47, v46
	v_mul_f32_e32 v34, v32, v46
	v_fma_f32 v47, -v45, v34, v32
	v_fmac_f32_e32 v34, v47, v46
	v_fma_f32 v32, -v45, v34, v32
	v_div_fmas_f32 v32, v32, v46, v34
	v_div_fixup_f32 v32, v32, |v26|, |v33|
	v_fma_f32 v32, v32, v32, 1.0
	v_cmp_gt_f32_e32 vcc, s52, v32
	v_mul_f32_e32 v34, 0x4f800000, v32
	v_cndmask_b32_e32 v32, v32, v34, vcc
	v_sqrt_f32_e32 v34, v32
	v_add_u32_e32 v45, -1, v34
	v_fma_f32 v46, -v45, v34, v32
	v_cmp_ge_f32_e64 s[6:7], 0, v46
	v_add_u32_e32 v46, 1, v34
	v_cndmask_b32_e64 v45, v34, v45, s[6:7]
	v_fma_f32 v34, -v46, v34, v32
	v_cmp_lt_f32_e64 s[6:7], 0, v34
	v_cndmask_b32_e64 v34, v45, v46, s[6:7]
	v_mul_f32_e32 v45, 0x37800000, v34
	v_cndmask_b32_e32 v34, v34, v45, vcc
	v_cmp_class_f32_e32 vcc, v32, v40
	v_cndmask_b32_e32 v32, v34, v32, vcc
	v_mul_f32_e64 v34, |v26|, v32
.LBB58_103:                             ;   in Loop: Header=BB58_55 Depth=2
	s_or_b64 exec, exec, s[70:71]
                                        ; implicit-def: $vgpr32
.LBB58_104:                             ;   in Loop: Header=BB58_55 Depth=2
	s_andn2_saveexec_b64 s[8:9], s[8:9]
	s_cbranch_execz .LBB58_106
; %bb.105:                              ;   in Loop: Header=BB58_55 Depth=2
	v_and_b32_e32 v34, 0x7fffffff, v33
	v_div_scale_f32 v45, s[6:7], v34, v34, v32
	v_div_scale_f32 v32, vcc, v32, v34, v32
	v_rcp_f32_e32 v46, v45
	v_fma_f32 v47, -v45, v46, 1.0
	v_fmac_f32_e32 v46, v47, v46
	v_mul_f32_e32 v34, v32, v46
	v_fma_f32 v47, -v45, v34, v32
	v_fmac_f32_e32 v34, v47, v46
	v_fma_f32 v32, -v45, v34, v32
	v_div_fmas_f32 v32, v32, v46, v34
	v_div_fixup_f32 v32, v32, |v33|, |v26|
	v_fma_f32 v32, v32, v32, 1.0
	v_cmp_gt_f32_e32 vcc, s52, v32
	v_mul_f32_e32 v34, 0x4f800000, v32
	v_cndmask_b32_e32 v32, v32, v34, vcc
	v_sqrt_f32_e32 v34, v32
	v_add_u32_e32 v45, -1, v34
	v_fma_f32 v46, -v45, v34, v32
	v_cmp_ge_f32_e64 s[6:7], 0, v46
	v_add_u32_e32 v46, 1, v34
	v_cndmask_b32_e64 v45, v34, v45, s[6:7]
	v_fma_f32 v34, -v46, v34, v32
	v_cmp_lt_f32_e64 s[6:7], 0, v34
	v_cndmask_b32_e64 v34, v45, v46, s[6:7]
	v_mul_f32_e32 v45, 0x37800000, v34
	v_cndmask_b32_e32 v34, v34, v45, vcc
	v_cmp_class_f32_e32 vcc, v32, v40
	v_cndmask_b32_e32 v32, v34, v32, vcc
	v_mul_f32_e64 v34, |v33|, v32
.LBB58_106:                             ;   in Loop: Header=BB58_55 Depth=2
	s_or_b64 exec, exec, s[8:9]
	v_add_f32_e32 v46, v35, v31
	v_cmp_gt_f32_e64 vcc, |v35|, |v31|
	v_cndmask_b32_e32 v45, v35, v31, vcc
	v_cndmask_b32_e32 v47, v31, v35, vcc
	v_cmp_ngt_f32_e32 vcc, 0, v46
                                        ; implicit-def: $vgpr32
	s_and_saveexec_b64 s[6:7], vcc
	s_xor_b64 s[6:7], exec, s[6:7]
	s_cbranch_execz .LBB58_112
; %bb.107:                              ;   in Loop: Header=BB58_55 Depth=2
	v_cmp_nlt_f32_e32 vcc, 0, v46
                                        ; implicit-def: $vgpr32
	s_and_saveexec_b64 s[8:9], vcc
	s_xor_b64 s[8:9], exec, s[8:9]
; %bb.108:                              ;   in Loop: Header=BB58_55 Depth=2
	v_mul_f32_e32 v31, 0.5, v34
	v_mul_f32_e32 v32, -0.5, v34
                                        ; implicit-def: $vgpr46
                                        ; implicit-def: $vgpr47
                                        ; implicit-def: $vgpr45
                                        ; implicit-def: $vgpr44
; %bb.109:                              ;   in Loop: Header=BB58_55 Depth=2
	s_andn2_saveexec_b64 s[8:9], s[8:9]
	s_cbranch_execz .LBB58_111
; %bb.110:                              ;   in Loop: Header=BB58_55 Depth=2
	v_add_f32_e32 v31, v46, v34
	v_mul_f32_e32 v31, 0.5, v31
	v_cvt_f64_f32_e32 v[46:47], v47
	v_cvt_f64_f32_e32 v[48:49], v31
	v_div_scale_f64 v[50:51], s[70:71], v[48:49], v[48:49], v[46:47]
	v_rcp_f64_e32 v[52:53], v[50:51]
	v_fma_f64 v[54:55], -v[50:51], v[52:53], 1.0
	v_fma_f64 v[52:53], v[52:53], v[54:55], v[52:53]
	v_fma_f64 v[54:55], -v[50:51], v[52:53], 1.0
	v_fma_f64 v[52:53], v[52:53], v[54:55], v[52:53]
	v_div_scale_f64 v[54:55], vcc, v[46:47], v[48:49], v[46:47]
	v_mul_f64 v[56:57], v[54:55], v[52:53]
	v_fma_f64 v[50:51], -v[50:51], v[56:57], v[54:55]
	s_nop 1
	v_div_fmas_f64 v[50:51], v[50:51], v[52:53], v[56:57]
	v_div_fixup_f64 v[46:47], v[50:51], v[48:49], v[46:47]
	v_cvt_f64_f32_e32 v[50:51], v45
	v_cvt_f64_f32_e32 v[44:45], v44
	v_div_scale_f64 v[52:53], s[70:71], v[48:49], v[48:49], v[44:45]
	v_rcp_f64_e32 v[54:55], v[52:53]
	v_fma_f64 v[56:57], -v[52:53], v[54:55], 1.0
	v_fma_f64 v[54:55], v[54:55], v[56:57], v[54:55]
	v_fma_f64 v[56:57], -v[52:53], v[54:55], 1.0
	v_fma_f64 v[54:55], v[54:55], v[56:57], v[54:55]
	v_div_scale_f64 v[56:57], vcc, v[44:45], v[48:49], v[44:45]
	v_mul_f64 v[58:59], v[56:57], v[54:55]
	v_fma_f64 v[52:53], -v[52:53], v[58:59], v[56:57]
	s_nop 1
	v_div_fmas_f64 v[52:53], v[52:53], v[54:55], v[58:59]
	v_div_fixup_f64 v[48:49], v[52:53], v[48:49], v[44:45]
	v_mul_f64 v[44:45], v[48:49], v[44:45]
	v_fma_f64 v[44:45], v[46:47], v[50:51], -v[44:45]
	v_cvt_f32_f64_e32 v32, v[44:45]
.LBB58_111:                             ;   in Loop: Header=BB58_55 Depth=2
	s_or_b64 exec, exec, s[8:9]
                                        ; implicit-def: $vgpr46
                                        ; implicit-def: $vgpr47
                                        ; implicit-def: $vgpr45
                                        ; implicit-def: $vgpr44
.LBB58_112:                             ;   in Loop: Header=BB58_55 Depth=2
	s_or_saveexec_b64 s[6:7], s[6:7]
	v_mov_b32_e32 v35, 1
	s_xor_b64 exec, exec, s[6:7]
	s_cbranch_execz .LBB58_114
; %bb.113:                              ;   in Loop: Header=BB58_55 Depth=2
	v_sub_f32_e32 v31, v46, v34
	v_mul_f32_e32 v31, 0.5, v31
	v_cvt_f64_f32_e32 v[46:47], v47
	v_cvt_f64_f32_e32 v[48:49], v31
	v_mov_b32_e32 v35, -1
	v_div_scale_f64 v[50:51], s[8:9], v[48:49], v[48:49], v[46:47]
	v_rcp_f64_e32 v[52:53], v[50:51]
	v_fma_f64 v[54:55], -v[50:51], v[52:53], 1.0
	v_fma_f64 v[52:53], v[52:53], v[54:55], v[52:53]
	v_fma_f64 v[54:55], -v[50:51], v[52:53], 1.0
	v_fma_f64 v[52:53], v[52:53], v[54:55], v[52:53]
	v_div_scale_f64 v[54:55], vcc, v[46:47], v[48:49], v[46:47]
	v_mul_f64 v[56:57], v[54:55], v[52:53]
	v_fma_f64 v[50:51], -v[50:51], v[56:57], v[54:55]
	s_nop 1
	v_div_fmas_f64 v[50:51], v[50:51], v[52:53], v[56:57]
	v_div_fixup_f64 v[46:47], v[50:51], v[48:49], v[46:47]
	v_cvt_f64_f32_e32 v[50:51], v45
	v_cvt_f64_f32_e32 v[44:45], v44
	v_div_scale_f64 v[52:53], s[8:9], v[48:49], v[48:49], v[44:45]
	v_rcp_f64_e32 v[54:55], v[52:53]
	v_fma_f64 v[56:57], -v[52:53], v[54:55], 1.0
	v_fma_f64 v[54:55], v[54:55], v[56:57], v[54:55]
	v_fma_f64 v[56:57], -v[52:53], v[54:55], 1.0
	v_fma_f64 v[54:55], v[54:55], v[56:57], v[54:55]
	v_div_scale_f64 v[56:57], vcc, v[44:45], v[48:49], v[44:45]
	v_mul_f64 v[58:59], v[56:57], v[54:55]
	v_fma_f64 v[52:53], -v[52:53], v[58:59], v[56:57]
	s_nop 1
	v_div_fmas_f64 v[52:53], v[52:53], v[54:55], v[58:59]
	v_div_fixup_f64 v[48:49], v[52:53], v[48:49], v[44:45]
	v_mul_f64 v[44:45], v[48:49], v[44:45]
	v_fma_f64 v[44:45], v[46:47], v[50:51], -v[44:45]
	v_cvt_f32_f64_e32 v32, v[44:45]
.LBB58_114:                             ;   in Loop: Header=BB58_55 Depth=2
	s_or_b64 exec, exec, s[6:7]
	v_cmp_nle_f32_e64 s[6:7], 0, v33
	v_cndmask_b32_e64 v34, v34, -v34, s[6:7]
	v_add_f32_e32 v33, v33, v34
	v_cmp_ngt_f32_e64 s[8:9], |v33|, |v26|
                                        ; implicit-def: $vgpr44
                                        ; implicit-def: $vgpr34
	s_and_saveexec_b64 s[70:71], s[8:9]
	s_xor_b64 s[70:71], exec, s[70:71]
	s_cbranch_execz .LBB58_118
; %bb.115:                              ;   in Loop: Header=BB58_55 Depth=2
	v_mov_b32_e32 v34, 0
	v_cmp_neq_f32_e32 vcc, 0, v26
	v_mov_b32_e32 v44, 1.0
	s_and_saveexec_b64 s[72:73], vcc
	s_cbranch_execz .LBB58_117
; %bb.116:                              ;   in Loop: Header=BB58_55 Depth=2
	v_div_scale_f32 v34, s[8:9], v26, v26, -v33
	v_div_scale_f32 v44, vcc, -v33, v26, -v33
	v_rcp_f32_e32 v45, v34
	v_fma_f32 v46, -v34, v45, 1.0
	v_fmac_f32_e32 v45, v46, v45
	v_mul_f32_e32 v46, v44, v45
	v_fma_f32 v47, -v34, v46, v44
	v_fmac_f32_e32 v46, v47, v45
	v_fma_f32 v34, -v34, v46, v44
	v_div_fmas_f32 v34, v34, v45, v46
	v_div_fixup_f32 v26, v34, v26, -v33
	v_fma_f32 v33, v26, v26, 1.0
	v_mul_f32_e32 v34, 0x4f800000, v33
	v_cmp_gt_f32_e32 vcc, s52, v33
	v_cndmask_b32_e32 v33, v33, v34, vcc
	v_sqrt_f32_e32 v34, v33
	v_add_u32_e32 v44, -1, v34
	v_add_u32_e32 v45, 1, v34
	v_fma_f32 v46, -v44, v34, v33
	v_fma_f32 v47, -v45, v34, v33
	v_cmp_ge_f32_e64 s[8:9], 0, v46
	v_cndmask_b32_e64 v34, v34, v44, s[8:9]
	v_cmp_lt_f32_e64 s[8:9], 0, v47
	v_cndmask_b32_e64 v34, v34, v45, s[8:9]
	v_mul_f32_e32 v44, 0x37800000, v34
	v_cndmask_b32_e32 v34, v34, v44, vcc
	v_cmp_class_f32_e32 vcc, v33, v40
	v_cndmask_b32_e32 v33, v34, v33, vcc
	v_div_scale_f32 v34, s[8:9], v33, v33, 1.0
	v_div_scale_f32 v44, vcc, 1.0, v33, 1.0
	v_rcp_f32_e32 v45, v34
	v_fma_f32 v46, -v34, v45, 1.0
	v_fmac_f32_e32 v45, v46, v45
	v_mul_f32_e32 v46, v44, v45
	v_fma_f32 v47, -v34, v46, v44
	v_fmac_f32_e32 v46, v47, v45
	v_fma_f32 v34, -v34, v46, v44
	v_div_fmas_f32 v34, v34, v45, v46
	v_div_fixup_f32 v44, v34, v33, 1.0
	v_mul_f32_e32 v34, v26, v44
.LBB58_117:                             ;   in Loop: Header=BB58_55 Depth=2
	s_or_b64 exec, exec, s[72:73]
                                        ; implicit-def: $vgpr33
                                        ; implicit-def: $vgpr26
.LBB58_118:                             ;   in Loop: Header=BB58_55 Depth=2
	s_andn2_saveexec_b64 s[70:71], s[70:71]
	s_cbranch_execz .LBB58_120
; %bb.119:                              ;   in Loop: Header=BB58_55 Depth=2
	v_div_scale_f32 v34, s[8:9], v33, v33, -v26
	v_div_scale_f32 v44, vcc, -v26, v33, -v26
	v_rcp_f32_e32 v45, v34
	v_fma_f32 v46, -v34, v45, 1.0
	v_fmac_f32_e32 v45, v46, v45
	v_mul_f32_e32 v46, v44, v45
	v_fma_f32 v47, -v34, v46, v44
	v_fmac_f32_e32 v46, v47, v45
	v_fma_f32 v34, -v34, v46, v44
	v_div_fmas_f32 v34, v34, v45, v46
	v_div_fixup_f32 v26, v34, v33, -v26
	v_fma_f32 v33, v26, v26, 1.0
	v_mul_f32_e32 v34, 0x4f800000, v33
	v_cmp_gt_f32_e32 vcc, s52, v33
	v_cndmask_b32_e32 v33, v33, v34, vcc
	v_sqrt_f32_e32 v34, v33
	v_add_u32_e32 v44, -1, v34
	v_add_u32_e32 v45, 1, v34
	v_fma_f32 v46, -v44, v34, v33
	v_fma_f32 v47, -v45, v34, v33
	v_cmp_ge_f32_e64 s[8:9], 0, v46
	v_cndmask_b32_e64 v34, v34, v44, s[8:9]
	v_cmp_lt_f32_e64 s[8:9], 0, v47
	v_cndmask_b32_e64 v34, v34, v45, s[8:9]
	v_mul_f32_e32 v44, 0x37800000, v34
	v_cndmask_b32_e32 v34, v34, v44, vcc
	v_cmp_class_f32_e32 vcc, v33, v40
	v_cndmask_b32_e32 v33, v34, v33, vcc
	v_div_scale_f32 v34, s[8:9], v33, v33, 1.0
	v_div_scale_f32 v44, vcc, 1.0, v33, 1.0
	v_rcp_f32_e32 v45, v34
	v_fma_f32 v46, -v34, v45, 1.0
	v_fmac_f32_e32 v45, v46, v45
	v_mul_f32_e32 v46, v44, v45
	v_fma_f32 v47, -v34, v46, v44
	v_fmac_f32_e32 v46, v47, v45
	v_fma_f32 v34, -v34, v46, v44
	v_div_fmas_f32 v34, v34, v45, v46
	v_div_fixup_f32 v34, v34, v33, 1.0
	v_mul_f32_e32 v44, v26, v34
.LBB58_120:                             ;   in Loop: Header=BB58_55 Depth=2
	s_or_b64 exec, exec, s[70:71]
	v_cndmask_b32_e64 v26, 1, -1, s[6:7]
	v_cmp_eq_u32_e32 vcc, v35, v26
	v_cndmask_b32_e32 v33, v34, v44, vcc
	v_cndmask_b32_e64 v34, v44, -v34, vcc
	v_mov_b32_e32 v35, s91
	v_add_co_u32_e32 v26, vcc, s90, v27
	v_addc_co_u32_e32 v27, vcc, v35, v28, vcc
	global_store_dword v[26:27], v34, off
	v_mov_b32_e32 v28, s49
	v_add_co_u32_e32 v26, vcc, s48, v26
	v_addc_co_u32_e32 v27, vcc, v27, v28, vcc
	v_add_u32_e32 v23, 2, v23
	global_store_dword v[26:27], v33, off offset:-4
	global_store_dwordx2 v[24:25], v[31:32], off
	global_store_dword v[29:30], v36, off
	ds_write_b32 v36, v23
	s_or_b64 exec, exec, s[68:69]
                                        ; implicit-def: $vgpr29
.LBB58_121:                             ;   in Loop: Header=BB58_55 Depth=2
	s_andn2_saveexec_b64 s[6:7], s[66:67]
.LBB58_122:                             ;   in Loop: Header=BB58_55 Depth=2
	ds_write_b32 v36, v29
.LBB58_123:                             ;   in Loop: Header=BB58_55 Depth=2
	s_or_b64 exec, exec, s[6:7]
.LBB58_124:                             ;   in Loop: Header=BB58_55 Depth=2
	s_or_b64 exec, exec, s[64:65]
	s_waitcnt vmcnt(0) lgkmcnt(0)
	s_barrier
	ds_read_b64 v[23:24], v36
	s_waitcnt lgkmcnt(0)
	v_readfirstlane_b32 s6, v24
	v_cmp_eq_u32_e32 vcc, s6, v23
	v_mov_b32_e32 v23, s6
	s_cbranch_vccnz .LBB58_54
; %bb.125:                              ;   in Loop: Header=BB58_55 Depth=2
	s_and_saveexec_b64 s[8:9], s[2:3]
	s_cbranch_execz .LBB58_53
; %bb.126:                              ;   in Loop: Header=BB58_55 Depth=2
	ds_read_b32 v23, v36 offset:16
	v_mov_b32_e32 v27, v0
	s_waitcnt lgkmcnt(0)
	v_readfirstlane_b32 s7, v23
	s_mul_i32 s64, s7, s15
	s_ashr_i32 s65, s64, 31
	s_lshl_b64 s[66:67], s[64:65], 3
	s_add_u32 s41, s88, s66
	s_addc_u32 s68, s89, s67
	s_sub_i32 s69, s6, s7
	s_mul_hi_i32 s7, s69, s44
	s_mul_i32 s6, s69, s44
	s_lshl_b64 s[6:7], s[6:7], 3
	s_add_u32 s70, s41, s6
	s_addc_u32 s71, s68, s7
	v_ashrrev_i32_e32 v24, 31, v23
	s_cmp_gt_i32 s69, 0
	v_lshlrev_b64 v[23:24], 2, v[23:24]
	s_cselect_b64 s[64:65], -1, 0
	s_add_i32 s62, s69, -1
	s_lshl_b64 s[6:7], s[62:63], 2
	v_mov_b32_e32 v25, s7
	v_add_co_u32_e32 v23, vcc, s6, v23
	s_mul_i32 s6, s57, s62
	s_mul_hi_u32 s7, s56, s62
	v_addc_co_u32_e32 v24, vcc, v24, v25, vcc
	s_add_i32 s7, s7, s6
	s_mul_i32 s6, s56, s62
	v_mov_b32_e32 v25, s91
	v_add_co_u32_e32 v23, vcc, s90, v23
	s_add_u32 s6, s6, s66
	v_addc_co_u32_e32 v24, vcc, v25, v24, vcc
	s_addc_u32 s7, s7, s67
	v_mov_b32_e32 v26, s7
	v_add_co_u32_e32 v25, vcc, s6, v38
	v_addc_co_u32_e32 v26, vcc, v39, v26, vcc
	s_mov_b64 s[66:67], 0
	s_branch .LBB58_128
.LBB58_127:                             ;   in Loop: Header=BB58_128 Depth=3
	v_add_u32_e32 v27, s34, v27
	v_cmp_le_i32_e32 vcc, s10, v27
	s_waitcnt vmcnt(0)
	global_store_dwordx2 v[28:29], v[34:35], off
	v_mov_b32_e32 v28, s61
	s_or_b64 s[66:67], vcc, s[66:67]
	v_add_co_u32_e32 v25, vcc, s60, v25
	v_addc_co_u32_e32 v26, vcc, v26, v28, vcc
	s_andn2_b64 exec, exec, s[66:67]
	s_cbranch_execz .LBB58_53
.LBB58_128:                             ;   Parent Loop BB58_7 Depth=1
                                        ;     Parent Loop BB58_55 Depth=2
                                        ; =>    This Loop Header: Depth=3
                                        ;         Child Loop BB58_129 Depth 4
	v_ashrrev_i32_e32 v28, 31, v27
	v_lshlrev_b64 v[28:29], 3, v[27:28]
	v_mov_b32_e32 v31, s71
	v_add_co_u32_e32 v30, vcc, s70, v28
	v_addc_co_u32_e32 v31, vcc, v31, v29, vcc
	global_load_dwordx2 v[34:35], v[30:31], off
	v_mov_b32_e32 v30, s68
	v_add_co_u32_e32 v28, vcc, s41, v28
	v_addc_co_u32_e32 v29, vcc, v30, v29, vcc
	v_mov_b32_e32 v31, v26
	v_mov_b32_e32 v33, v24
	s_andn2_b64 vcc, exec, s[64:65]
	v_mov_b32_e32 v30, v25
	v_mov_b32_e32 v32, v23
	s_mov_b32 s6, s69
	s_cbranch_vccnz .LBB58_127
.LBB58_129:                             ;   Parent Loop BB58_7 Depth=1
                                        ;     Parent Loop BB58_55 Depth=2
                                        ;       Parent Loop BB58_128 Depth=3
                                        ; =>      This Inner Loop Header: Depth=4
	v_mov_b32_e32 v47, s58
	v_add_co_u32_e32 v46, vcc, s11, v32
	v_addc_co_u32_e32 v47, vcc, v33, v47, vcc
	global_load_dwordx2 v[44:45], v[30:31], off offset:-4
	global_load_dword v48, v[46:47], off
	global_load_dword v49, v[32:33], off
	s_mul_i32 s73, s6, s45
	s_mul_hi_u32 s74, s6, s44
	s_add_i32 s62, s6, -1
	s_waitcnt vmcnt(3)
	v_mov_b32_e32 v51, v34
	s_mul_i32 s72, s6, s44
	v_add_co_u32_e32 v32, vcc, -4, v32
	v_mov_b32_e32 v34, s59
	v_add_co_u32_e64 v30, s[6:7], s35, v30
	s_add_i32 s73, s74, s73
	v_addc_co_u32_e32 v33, vcc, -1, v33, vcc
	v_addc_co_u32_e64 v31, vcc, v31, v34, s[6:7]
	s_lshl_b64 s[72:73], s[72:73], 3
	v_mov_b32_e32 v34, s73
	v_add_co_u32_e32 v46, vcc, s72, v28
	v_mov_b32_e32 v50, v35
	v_addc_co_u32_e32 v47, vcc, v29, v34, vcc
	s_mov_b32 s6, s62
	s_cmp_eq_u32 s62, 0
	s_waitcnt vmcnt(0)
	v_mul_f32_e32 v34, v49, v44
	v_mul_f32_e32 v35, v49, v45
	;; [unrolled: 1-line block ×4, first 2 shown]
	v_fmac_f32_e32 v34, v51, v48
	v_fmac_f32_e32 v35, v50, v48
	v_fma_f32 v44, v51, v49, -v44
	v_fma_f32 v45, v50, v49, -v45
	global_store_dwordx2 v[46:47], v[44:45], off
	s_cbranch_scc0 .LBB58_129
	s_branch .LBB58_127
.LBB58_130:                             ;   in Loop: Header=BB58_55 Depth=2
	s_or_b64 exec, exec, s[68:69]
                                        ; implicit-def: $vgpr29
	s_andn2_saveexec_b64 s[6:7], s[66:67]
	s_cbranch_execnz .LBB58_122
	s_branch .LBB58_123
.LBB58_131:                             ;   in Loop: Header=BB58_133 Depth=2
	s_or_b64 exec, exec, s[4:5]
	s_waitcnt vmcnt(0)
	s_barrier
	ds_read_b32 v15, v36
.LBB58_132:                             ;   in Loop: Header=BB58_133 Depth=2
	ds_read2_b32 v[17:18], v36 offset0:5 offset1:7
	s_waitcnt lgkmcnt(0)
	v_cmp_ge_i32_e32 vcc, v15, v17
	v_cmp_gt_i32_e64 s[4:5], s28, v18
	s_and_b64 s[4:5], vcc, s[4:5]
	s_andn2_b64 vcc, exec, s[4:5]
	s_cbranch_vccnz .LBB58_210
.LBB58_133:                             ;   Parent Loop BB58_7 Depth=1
                                        ; =>  This Loop Header: Depth=2
                                        ;       Child Loop BB58_139 Depth 3
                                        ;       Child Loop BB58_159 Depth 3
	;; [unrolled: 1-line block ×3, first 2 shown]
                                        ;         Child Loop BB58_207 Depth 4
	s_and_saveexec_b64 s[8:9], s[0:1]
	s_cbranch_execz .LBB58_202
; %bb.134:                              ;   in Loop: Header=BB58_133 Depth=2
	v_cmp_gt_i32_e32 vcc, v15, v17
	s_mov_b64 s[4:5], 0
	s_cbranch_vccnz .LBB58_136
; %bb.135:                              ;   in Loop: Header=BB58_133 Depth=2
	v_ashrrev_i32_e32 v16, 31, v15
	v_mov_b32_e32 v21, v16
	s_mov_b64 s[6:7], -1
	v_mov_b32_e32 v20, v15
	v_mov_b32_e32 v19, v15
	s_cbranch_execz .LBB58_137
	s_branch .LBB58_142
.LBB58_136:                             ;   in Loop: Header=BB58_133 Depth=2
                                        ; implicit-def: $vgpr20_vgpr21
	s_mov_b64 s[6:7], 0
	v_mov_b32_e32 v19, v15
.LBB58_137:                             ;   in Loop: Header=BB58_133 Depth=2
	v_ashrrev_i32_e32 v16, 31, v15
	v_lshlrev_b64 v[7:8], 2, v[15:16]
	v_mov_b32_e32 v2, s33
	v_add_co_u32_e32 v1, vcc, s14, v7
	v_addc_co_u32_e32 v2, vcc, v2, v8, vcc
	v_mov_b32_e32 v19, s51
	v_add_co_u32_e32 v7, vcc, s50, v7
	v_addc_co_u32_e32 v8, vcc, v19, v8, vcc
	v_mov_b32_e32 v19, v15
	s_branch .LBB58_139
.LBB58_138:                             ;   in Loop: Header=BB58_139 Depth=3
	v_add_u32_e32 v19, -1, v42
	v_add_co_u32_e32 v7, vcc, -4, v7
	v_addc_co_u32_e32 v8, vcc, -1, v8, vcc
	s_mov_b64 s[6:7], 0
	v_cmp_le_i32_e64 s[4:5], v19, v17
	s_andn2_b64 vcc, exec, s[4:5]
	v_add_co_u32_e64 v1, s[4:5], -4, v1
	v_addc_co_u32_e64 v2, s[4:5], -1, v2, s[4:5]
	s_cbranch_vccz .LBB58_141
.LBB58_139:                             ;   Parent Loop BB58_7 Depth=1
                                        ;     Parent Loop BB58_133 Depth=2
                                        ; =>    This Inner Loop Header: Depth=3
	global_load_dword v22, v[1:2], off offset:-4
	global_load_dwordx2 v[20:21], v[7:8], off
	v_mov_b32_e32 v42, v19
	s_waitcnt vmcnt(1)
	v_mul_f32_e32 v19, v22, v22
	s_waitcnt vmcnt(0)
	v_mul_f32_e32 v20, v21, v20
	v_mul_f32_e64 v20, v37, |v20|
	v_cmp_le_f32_e64 s[4:5], |v19|, v20
	s_and_b64 vcc, exec, s[4:5]
	s_cbranch_vccz .LBB58_138
; %bb.140:                              ;   in Loop: Header=BB58_133 Depth=2
	s_mov_b64 s[6:7], -1
                                        ; implicit-def: $vgpr19
                                        ; implicit-def: $vgpr7_vgpr8
	v_add_co_u32_e64 v1, s[4:5], -4, v1
	v_addc_co_u32_e64 v2, s[4:5], -1, v2, s[4:5]
.LBB58_141:                             ;   in Loop: Header=BB58_133 Depth=2
	v_mov_b32_e32 v7, v15
	v_mov_b32_e32 v21, v16
	s_xor_b64 s[6:7], s[6:7], -1
	s_mov_b64 s[4:5], -1
	v_mov_b32_e32 v8, v16
	v_mov_b32_e32 v19, v17
	v_mov_b32_e32 v20, v15
.LBB58_142:                             ;   in Loop: Header=BB58_133 Depth=2
	s_and_b64 vcc, exec, s[6:7]
	s_cbranch_vccnz .LBB58_171
; %bb.143:                              ;   in Loop: Header=BB58_133 Depth=2
	s_andn2_b64 vcc, exec, s[4:5]
	s_cbranch_vccnz .LBB58_145
.LBB58_144:                             ;   in Loop: Header=BB58_133 Depth=2
	v_mov_b32_e32 v21, v8
	v_mov_b32_e32 v20, v7
	;; [unrolled: 1-line block ×3, first 2 shown]
	ds_write2_b32 v36, v42, v15 offset0:1 offset1:4
	global_store_dword v[1:2], v36, off
.LBB58_145:                             ;   in Loop: Header=BB58_133 Depth=2
	v_lshlrev_b64 v[21:22], 2, v[20:21]
	v_mov_b32_e32 v17, s23
	v_add_co_u32_e32 v16, vcc, s22, v21
	v_addc_co_u32_e32 v17, vcc, v17, v22, vcc
	global_load_dword v27, v[16:17], off
	v_cmp_ne_u32_e32 vcc, v19, v15
	v_add_u32_e32 v20, -1, v15
	s_waitcnt vmcnt(0)
	ds_write_b32 v36, v27 offset:8
	s_and_saveexec_b64 s[4:5], vcc
	s_xor_b64 s[64:65], exec, s[4:5]
	s_cbranch_execz .LBB58_199
; %bb.146:                              ;   in Loop: Header=BB58_133 Depth=2
	v_cmp_ne_u32_e32 vcc, v19, v20
	s_and_saveexec_b64 s[4:5], vcc
	s_xor_b64 s[6:7], exec, s[4:5]
	s_cbranch_execz .LBB58_175
; %bb.147:                              ;   in Loop: Header=BB58_133 Depth=2
	v_mov_b32_e32 v23, s33
	v_add_co_u32_e32 v21, vcc, s14, v21
	v_addc_co_u32_e32 v22, vcc, v23, v22, vcc
	global_load_dword v20, v[16:17], off offset:-4
	global_load_dword v30, v[21:22], off offset:-4
	v_mov_b32_e32 v32, s23
	v_add_u32_e32 v18, 1, v18
	ds_write2_b32 v36, v36, v18 offset0:2 offset1:7
	s_waitcnt vmcnt(1)
	v_sub_f32_e32 v29, v20, v27
	s_waitcnt vmcnt(0)
	v_add_f32_e32 v31, v30, v30
	v_div_scale_f32 v23, s[4:5], v31, v31, v29
	v_div_scale_f32 v24, vcc, v29, v31, v29
	v_ashrrev_i32_e32 v20, 31, v19
	v_lshlrev_b64 v[25:26], 2, v[19:20]
	v_rcp_f32_e32 v28, v23
	v_fma_f32 v20, -v23, v28, 1.0
	v_fmac_f32_e32 v28, v20, v28
	v_mul_f32_e32 v20, v24, v28
	v_fma_f32 v33, -v23, v20, v24
	v_fmac_f32_e32 v20, v33, v28
	v_fma_f32 v23, -v23, v20, v24
	v_div_fmas_f32 v20, v23, v28, v20
	v_add_co_u32_e32 v23, vcc, s22, v25
	v_addc_co_u32_e32 v24, vcc, v32, v26, vcc
	global_load_dword v28, v[23:24], off
	v_div_fixup_f32 v20, v20, v31, v29
	v_fma_f32 v29, v20, v20, 1.0
	v_mul_f32_e32 v31, 0x4f800000, v29
	v_cmp_gt_f32_e32 vcc, s52, v29
	v_cndmask_b32_e32 v29, v29, v31, vcc
	v_sqrt_f32_e32 v31, v29
	v_add_u32_e32 v32, -1, v31
	v_add_u32_e32 v33, 1, v31
	v_fma_f32 v34, -v32, v31, v29
	v_fma_f32 v35, -v33, v31, v29
	v_cmp_ge_f32_e64 s[4:5], 0, v34
	v_cndmask_b32_e64 v31, v31, v32, s[4:5]
	v_cmp_lt_f32_e64 s[4:5], 0, v35
	v_cndmask_b32_e64 v31, v31, v33, s[4:5]
	v_mul_f32_e32 v32, 0x37800000, v31
	v_cndmask_b32_e32 v31, v31, v32, vcc
	v_cmp_class_f32_e32 vcc, v29, v40
	v_cndmask_b32_e32 v29, v31, v29, vcc
	v_cmp_nle_f32_e32 vcc, 0, v20
	v_cndmask_b32_e64 v29, |v29|, -|v29|, vcc
	v_add_f32_e32 v20, v20, v29
	v_div_scale_f32 v29, s[4:5], v20, v20, v30
	v_div_scale_f32 v31, vcc, v30, v20, v30
	v_rcp_f32_e32 v32, v29
	v_fma_f32 v33, -v29, v32, 1.0
	v_fmac_f32_e32 v32, v33, v32
	v_mul_f32_e32 v33, v31, v32
	v_fma_f32 v34, -v29, v33, v31
	v_fmac_f32_e32 v33, v34, v32
	v_fma_f32 v29, -v29, v33, v31
	v_div_fmas_f32 v31, v29, v32, v33
	v_mov_b32_e32 v29, 0
	v_cmp_lt_i32_e32 vcc, v19, v15
	v_div_fixup_f32 v20, v31, v20, v30
	s_waitcnt vmcnt(0)
	v_sub_f32_e32 v18, v28, v27
	v_add_f32_e32 v18, v18, v20
	s_and_saveexec_b64 s[66:67], vcc
	s_cbranch_execz .LBB58_174
; %bb.148:                              ;   in Loop: Header=BB58_133 Depth=2
	v_mov_b32_e32 v20, s33
	v_add_co_u32_e32 v29, vcc, s14, v25
	v_addc_co_u32_e32 v30, vcc, v20, v26, vcc
	global_load_dword v30, v[29:30], off
	v_mov_b32_e32 v32, 0
	v_mov_b32_e32 v20, 1.0
	s_waitcnt vmcnt(0)
	v_cmp_neq_f32_e32 vcc, 0, v30
	s_and_saveexec_b64 s[68:69], vcc
	s_cbranch_execz .LBB58_156
; %bb.149:                              ;   in Loop: Header=BB58_133 Depth=2
	v_mov_b32_e32 v20, 0
	v_cmp_neq_f32_e32 vcc, 0, v18
	v_mov_b32_e32 v32, 1.0
	s_and_saveexec_b64 s[70:71], vcc
	s_cbranch_execz .LBB58_155
; %bb.150:                              ;   in Loop: Header=BB58_133 Depth=2
	v_cmp_ngt_f32_e64 s[4:5], |v30|, |v18|
                                        ; implicit-def: $vgpr32
                                        ; implicit-def: $vgpr20
	s_and_saveexec_b64 s[72:73], s[4:5]
	s_xor_b64 s[72:73], exec, s[72:73]
	s_cbranch_execz .LBB58_152
; %bb.151:                              ;   in Loop: Header=BB58_133 Depth=2
	v_div_scale_f32 v20, s[4:5], v18, v18, -v30
	v_div_scale_f32 v27, vcc, -v30, v18, -v30
	v_rcp_f32_e32 v29, v20
	v_fma_f32 v31, -v20, v29, 1.0
	v_fmac_f32_e32 v29, v31, v29
	v_mul_f32_e32 v31, v27, v29
	v_fma_f32 v32, -v20, v31, v27
	v_fmac_f32_e32 v31, v32, v29
	v_fma_f32 v20, -v20, v31, v27
	v_div_fmas_f32 v20, v20, v29, v31
	v_div_fixup_f32 v18, v20, v18, -v30
	v_fma_f32 v20, v18, v18, 1.0
	v_mul_f32_e32 v27, 0x4f800000, v20
	v_cmp_gt_f32_e32 vcc, s52, v20
	v_cndmask_b32_e32 v20, v20, v27, vcc
	v_sqrt_f32_e32 v27, v20
	v_add_u32_e32 v29, -1, v27
	v_add_u32_e32 v31, 1, v27
	v_fma_f32 v32, -v29, v27, v20
	v_fma_f32 v33, -v31, v27, v20
	v_cmp_ge_f32_e64 s[4:5], 0, v32
	v_cndmask_b32_e64 v27, v27, v29, s[4:5]
	v_cmp_lt_f32_e64 s[4:5], 0, v33
	v_cndmask_b32_e64 v27, v27, v31, s[4:5]
	v_mul_f32_e32 v29, 0x37800000, v27
	v_cndmask_b32_e32 v27, v27, v29, vcc
	v_cmp_class_f32_e32 vcc, v20, v40
	v_cndmask_b32_e32 v20, v27, v20, vcc
	v_div_scale_f32 v27, s[4:5], v20, v20, 1.0
	v_div_scale_f32 v29, vcc, 1.0, v20, 1.0
	v_rcp_f32_e32 v31, v27
	v_fma_f32 v32, -v27, v31, 1.0
	v_fmac_f32_e32 v31, v32, v31
	v_mul_f32_e32 v32, v29, v31
	v_fma_f32 v33, -v27, v32, v29
	v_fmac_f32_e32 v32, v33, v31
	v_fma_f32 v27, -v27, v32, v29
	v_div_fmas_f32 v27, v27, v31, v32
	v_div_fixup_f32 v20, v27, v20, 1.0
	v_mul_f32_e32 v32, v18, v20
                                        ; implicit-def: $vgpr18
.LBB58_152:                             ;   in Loop: Header=BB58_133 Depth=2
	s_andn2_saveexec_b64 s[72:73], s[72:73]
	s_cbranch_execz .LBB58_154
; %bb.153:                              ;   in Loop: Header=BB58_133 Depth=2
	v_div_scale_f32 v20, s[4:5], v30, v30, -v18
	v_div_scale_f32 v27, vcc, -v18, v30, -v18
	v_rcp_f32_e32 v29, v20
	v_fma_f32 v31, -v20, v29, 1.0
	v_fmac_f32_e32 v29, v31, v29
	v_mul_f32_e32 v31, v27, v29
	v_fma_f32 v32, -v20, v31, v27
	v_fmac_f32_e32 v31, v32, v29
	v_fma_f32 v20, -v20, v31, v27
	v_div_fmas_f32 v20, v20, v29, v31
	v_div_fixup_f32 v18, v20, v30, -v18
	v_fma_f32 v20, v18, v18, 1.0
	v_mul_f32_e32 v27, 0x4f800000, v20
	v_cmp_gt_f32_e32 vcc, s52, v20
	v_cndmask_b32_e32 v20, v20, v27, vcc
	v_sqrt_f32_e32 v27, v20
	v_add_u32_e32 v29, -1, v27
	v_add_u32_e32 v31, 1, v27
	v_fma_f32 v32, -v29, v27, v20
	v_fma_f32 v33, -v31, v27, v20
	v_cmp_ge_f32_e64 s[4:5], 0, v32
	v_cndmask_b32_e64 v27, v27, v29, s[4:5]
	v_cmp_lt_f32_e64 s[4:5], 0, v33
	v_cndmask_b32_e64 v27, v27, v31, s[4:5]
	v_mul_f32_e32 v29, 0x37800000, v27
	v_cndmask_b32_e32 v27, v27, v29, vcc
	v_cmp_class_f32_e32 vcc, v20, v40
	v_cndmask_b32_e32 v20, v27, v20, vcc
	v_div_scale_f32 v27, s[4:5], v20, v20, 1.0
	v_div_scale_f32 v29, vcc, 1.0, v20, 1.0
	v_rcp_f32_e32 v31, v27
	v_fma_f32 v32, -v27, v31, 1.0
	v_fmac_f32_e32 v31, v32, v31
	v_mul_f32_e32 v32, v29, v31
	v_fma_f32 v33, -v27, v32, v29
	v_fmac_f32_e32 v32, v33, v31
	v_fma_f32 v27, -v27, v32, v29
	v_div_fmas_f32 v27, v27, v31, v32
	v_div_fixup_f32 v32, v27, v20, 1.0
	v_mul_f32_e32 v20, v18, v32
.LBB58_154:                             ;   in Loop: Header=BB58_133 Depth=2
	s_or_b64 exec, exec, s[72:73]
.LBB58_155:                             ;   in Loop: Header=BB58_133 Depth=2
	s_or_b64 exec, exec, s[70:71]
.LBB58_156:                             ;   in Loop: Header=BB58_133 Depth=2
	s_or_b64 exec, exec, s[68:69]
	global_load_dword v18, v[23:24], off offset:4
	v_mov_b32_e32 v33, s91
	v_add_co_u32_e32 v25, vcc, s90, v25
	v_addc_co_u32_e32 v26, vcc, v33, v26, vcc
	v_add_f32_e32 v29, v20, v20
	v_mov_b32_e32 v34, s49
	v_add_co_u32_e32 v33, vcc, s48, v25
	v_add_u32_e32 v27, 1, v19
	v_addc_co_u32_e32 v34, vcc, v26, v34, vcc
	v_xor_b32_e32 v31, 0x80000000, v32
	v_cmp_lt_i32_e32 vcc, v27, v15
	s_waitcnt vmcnt(0)
	v_sub_f32_e32 v18, v18, v28
	v_mul_f32_e32 v18, v32, v18
	v_fma_f32 v18, v30, v29, -v18
	v_mul_f32_e64 v29, v18, -v32
	v_fma_f32 v28, v18, -v32, v28
	v_fma_f32 v18, v20, v18, -v30
	ds_write_b32 v36, v29 offset:8
	global_store_dword v[23:24], v28, off
	global_store_dword v[25:26], v20, off
	global_store_dword v[33:34], v31, off offset:-4
	s_and_saveexec_b64 s[68:69], vcc
	s_cbranch_execz .LBB58_173
; %bb.157:                              ;   in Loop: Header=BB58_133 Depth=2
	v_ashrrev_i32_e32 v28, 31, v27
	v_lshlrev_b64 v[27:28], 2, v[27:28]
	v_mov_b32_e32 v24, s91
	v_add_co_u32_e32 v23, vcc, s90, v27
	v_addc_co_u32_e32 v24, vcc, v24, v28, vcc
	v_mov_b32_e32 v26, s55
	v_add_co_u32_e32 v25, vcc, s54, v27
	v_addc_co_u32_e32 v26, vcc, v26, v28, vcc
	;; [unrolled: 3-line block ×3, first 2 shown]
	s_mov_b32 s41, 1
	s_mov_b64 s[70:71], 0
	s_branch .LBB58_159
.LBB58_158:                             ;   in Loop: Header=BB58_159 Depth=3
	global_load_dwordx2 v[34:35], v[27:28], off
	v_add_co_u32_e32 v25, vcc, 4, v25
	v_addc_co_u32_e32 v26, vcc, 0, v26, vcc
	v_add_co_u32_e32 v44, vcc, 4, v27
	v_addc_co_u32_e32 v45, vcc, 0, v28, vcc
	v_mul_f32_e32 v18, v20, v30
	v_mov_b32_e32 v30, s58
	s_add_i32 s41, s41, 1
	v_add_co_u32_e32 v46, vcc, s11, v23
	v_addc_co_u32_e32 v47, vcc, v24, v30, vcc
	v_add_u32_e32 v30, s41, v19
	v_cmp_ge_i32_e32 vcc, v30, v15
	v_add_f32_e32 v20, v32, v32
	v_xor_b32_e32 v31, 0x80000000, v33
	s_or_b64 s[70:71], vcc, s[70:71]
	s_waitcnt vmcnt(0)
	v_sub_f32_e32 v30, v34, v29
	v_sub_f32_e32 v29, v35, v30
	v_mul_f32_e32 v29, v33, v29
	v_fma_f32 v20, v18, v20, -v29
	v_fma_f32 v30, v20, -v33, v30
	global_store_dword v[27:28], v30, off
	global_store_dword v[23:24], v32, off
	;; [unrolled: 1-line block ×3, first 2 shown]
	v_add_co_u32_e32 v23, vcc, 4, v23
	v_mov_b32_e32 v27, v44
	v_mul_f32_e64 v29, v20, -v33
	v_fma_f32 v18, v32, v20, -v18
	v_addc_co_u32_e32 v24, vcc, 0, v24, vcc
	v_mov_b32_e32 v28, v45
	v_mov_b32_e32 v20, v32
	s_andn2_b64 exec, exec, s[70:71]
	s_cbranch_execz .LBB58_172
.LBB58_159:                             ;   Parent Loop BB58_7 Depth=1
                                        ;     Parent Loop BB58_133 Depth=2
                                        ; =>    This Inner Loop Header: Depth=3
	global_load_dword v30, v[25:26], off offset:4
	v_mov_b32_e32 v33, 0
	v_mov_b32_e32 v32, 1.0
	s_waitcnt vmcnt(0)
	v_mul_f32_e32 v31, v31, v30
	v_cmp_neq_f32_e32 vcc, 0, v31
	s_and_saveexec_b64 s[72:73], vcc
	s_cbranch_execz .LBB58_169
; %bb.160:                              ;   in Loop: Header=BB58_159 Depth=3
	v_cmp_neq_f32_e32 vcc, 0, v18
	v_xor_b32_e32 v34, 0x80000000, v31
                                        ; implicit-def: $vgpr33
                                        ; implicit-def: $vgpr32
	s_and_saveexec_b64 s[4:5], vcc
	s_xor_b64 s[74:75], exec, s[4:5]
	s_cbranch_execz .LBB58_166
; %bb.161:                              ;   in Loop: Header=BB58_159 Depth=3
	v_cmp_ngt_f32_e64 s[4:5], |v31|, |v18|
                                        ; implicit-def: $vgpr33
                                        ; implicit-def: $vgpr32
	s_and_saveexec_b64 s[76:77], s[4:5]
	s_xor_b64 s[76:77], exec, s[76:77]
	s_cbranch_execz .LBB58_163
; %bb.162:                              ;   in Loop: Header=BB58_159 Depth=3
	v_div_scale_f32 v32, s[4:5], v18, v18, -v31
	v_div_scale_f32 v33, vcc, -v31, v18, -v31
	v_rcp_f32_e32 v34, v32
	v_fma_f32 v35, -v32, v34, 1.0
	v_fmac_f32_e32 v34, v35, v34
	v_mul_f32_e32 v35, v33, v34
	v_fma_f32 v44, -v32, v35, v33
	v_fmac_f32_e32 v35, v44, v34
	v_fma_f32 v32, -v32, v35, v33
	v_div_fmas_f32 v32, v32, v34, v35
	v_div_fixup_f32 v33, v32, v18, -v31
	v_fma_f32 v32, v33, v33, 1.0
	v_mul_f32_e32 v34, 0x4f800000, v32
	v_cmp_gt_f32_e32 vcc, s52, v32
	v_cndmask_b32_e32 v32, v32, v34, vcc
	v_sqrt_f32_e32 v34, v32
	v_add_u32_e32 v35, -1, v34
	v_add_u32_e32 v44, 1, v34
	v_fma_f32 v45, -v35, v34, v32
	v_fma_f32 v46, -v44, v34, v32
	v_cmp_ge_f32_e64 s[4:5], 0, v45
	v_cndmask_b32_e64 v34, v34, v35, s[4:5]
	v_cmp_lt_f32_e64 s[4:5], 0, v46
	v_cndmask_b32_e64 v34, v34, v44, s[4:5]
	v_mul_f32_e32 v35, 0x37800000, v34
	v_cndmask_b32_e32 v34, v34, v35, vcc
	v_cmp_class_f32_e32 vcc, v32, v40
	v_cndmask_b32_e32 v32, v34, v32, vcc
	v_div_scale_f32 v34, s[4:5], v32, v32, 1.0
	v_div_scale_f32 v35, vcc, 1.0, v32, 1.0
	v_rcp_f32_e32 v44, v34
	v_fma_f32 v45, -v34, v44, 1.0
	v_fmac_f32_e32 v44, v45, v44
	v_mul_f32_e32 v45, v35, v44
	v_fma_f32 v46, -v34, v45, v35
	v_fmac_f32_e32 v45, v46, v44
	v_fma_f32 v34, -v34, v45, v35
	v_div_fmas_f32 v34, v34, v44, v45
	v_div_fixup_f32 v32, v34, v32, 1.0
	v_mul_f32_e32 v33, v33, v32
.LBB58_163:                             ;   in Loop: Header=BB58_159 Depth=3
	s_andn2_saveexec_b64 s[76:77], s[76:77]
	s_cbranch_execz .LBB58_165
; %bb.164:                              ;   in Loop: Header=BB58_159 Depth=3
	v_div_scale_f32 v32, s[4:5], v31, v31, -v18
	v_div_scale_f32 v33, vcc, -v18, v31, -v18
	v_rcp_f32_e32 v34, v32
	v_fma_f32 v35, -v32, v34, 1.0
	v_fmac_f32_e32 v34, v35, v34
	v_mul_f32_e32 v35, v33, v34
	v_fma_f32 v44, -v32, v35, v33
	v_fmac_f32_e32 v35, v44, v34
	v_fma_f32 v32, -v32, v35, v33
	v_div_fmas_f32 v32, v32, v34, v35
	v_div_fixup_f32 v32, v32, v31, -v18
	v_fma_f32 v33, v32, v32, 1.0
	v_mul_f32_e32 v34, 0x4f800000, v33
	v_cmp_gt_f32_e32 vcc, s52, v33
	v_cndmask_b32_e32 v33, v33, v34, vcc
	v_sqrt_f32_e32 v34, v33
	v_add_u32_e32 v35, -1, v34
	v_add_u32_e32 v44, 1, v34
	v_fma_f32 v45, -v35, v34, v33
	v_fma_f32 v46, -v44, v34, v33
	v_cmp_ge_f32_e64 s[4:5], 0, v45
	v_cndmask_b32_e64 v34, v34, v35, s[4:5]
	v_cmp_lt_f32_e64 s[4:5], 0, v46
	v_cndmask_b32_e64 v34, v34, v44, s[4:5]
	v_mul_f32_e32 v35, 0x37800000, v34
	v_cndmask_b32_e32 v34, v34, v35, vcc
	v_cmp_class_f32_e32 vcc, v33, v40
	v_cndmask_b32_e32 v33, v34, v33, vcc
	v_div_scale_f32 v34, s[4:5], v33, v33, 1.0
	v_div_scale_f32 v35, vcc, 1.0, v33, 1.0
	v_rcp_f32_e32 v44, v34
	v_fma_f32 v45, -v34, v44, 1.0
	v_fmac_f32_e32 v44, v45, v44
	v_mul_f32_e32 v45, v35, v44
	v_fma_f32 v46, -v34, v45, v35
	v_fmac_f32_e32 v45, v46, v44
	v_fma_f32 v34, -v34, v45, v35
	v_div_fmas_f32 v34, v34, v44, v45
	v_div_fixup_f32 v33, v34, v33, 1.0
	v_mul_f32_e32 v32, v32, v33
.LBB58_165:                             ;   in Loop: Header=BB58_159 Depth=3
	s_or_b64 exec, exec, s[76:77]
	v_mul_f32_e32 v31, v31, v33
	v_fma_f32 v34, v18, v32, -v31
.LBB58_166:                             ;   in Loop: Header=BB58_159 Depth=3
	s_andn2_saveexec_b64 s[4:5], s[74:75]
; %bb.167:                              ;   in Loop: Header=BB58_159 Depth=3
	v_mov_b32_e32 v32, 0
	v_mov_b32_e32 v33, 1.0
; %bb.168:                              ;   in Loop: Header=BB58_159 Depth=3
	s_or_b64 exec, exec, s[4:5]
	v_mov_b32_e32 v18, v34
.LBB58_169:                             ;   in Loop: Header=BB58_159 Depth=3
	s_or_b64 exec, exec, s[72:73]
	s_cmp_eq_u32 s41, 0
	s_cbranch_scc1 .LBB58_158
; %bb.170:                              ;   in Loop: Header=BB58_159 Depth=3
	global_store_dword v[25:26], v18, off
	s_branch .LBB58_158
.LBB58_171:                             ;   in Loop: Header=BB58_133 Depth=2
	ds_write2_b32 v36, v19, v15 offset0:1 offset1:4
	s_cbranch_execz .LBB58_144
	s_branch .LBB58_145
.LBB58_172:                             ;   in Loop: Header=BB58_133 Depth=2
	s_or_b64 exec, exec, s[70:71]
	ds_write_b32 v36, v29 offset:8
.LBB58_173:                             ;   in Loop: Header=BB58_133 Depth=2
	s_or_b64 exec, exec, s[68:69]
	global_load_dword v27, v[16:17], off
.LBB58_174:                             ;   in Loop: Header=BB58_133 Depth=2
	s_or_b64 exec, exec, s[66:67]
	s_waitcnt vmcnt(0)
	v_sub_f32_e32 v15, v27, v29
	global_store_dword v[16:17], v15, off
	global_store_dword v[21:22], v18, off offset:-4
                                        ; implicit-def: $vgpr16_vgpr17
                                        ; implicit-def: $vgpr21_vgpr22
                                        ; implicit-def: $vgpr15
                                        ; implicit-def: $vgpr27
                                        ; implicit-def: $vgpr19
.LBB58_175:                             ;   in Loop: Header=BB58_133 Depth=2
	s_andn2_saveexec_b64 s[66:67], s[6:7]
	s_cbranch_execz .LBB58_208
; %bb.176:                              ;   in Loop: Header=BB58_133 Depth=2
	v_ashrrev_i32_e32 v20, 31, v19
	v_lshlrev_b64 v[18:19], 2, v[19:20]
	v_mov_b32_e32 v20, s23
	v_add_co_u32_e32 v23, vcc, s22, v18
	v_addc_co_u32_e32 v24, vcc, v20, v19, vcc
	v_mov_b32_e32 v20, s33
	v_add_co_u32_e32 v25, vcc, s14, v18
	v_addc_co_u32_e32 v26, vcc, v20, v19, vcc
	global_load_dword v23, v[23:24], off
	s_nop 0
	global_load_dword v28, v[25:26], off
                                        ; implicit-def: $vgpr26
	s_waitcnt vmcnt(1)
	v_sub_f32_e32 v25, v23, v27
	s_waitcnt vmcnt(0)
	v_add_f32_e32 v20, v28, v28
	v_and_b32_e32 v24, 0x7fffffff, v20
	v_cmp_ngt_f32_e64 s[4:5], |v25|, |v20|
	s_and_saveexec_b64 s[6:7], s[4:5]
	s_xor_b64 s[6:7], exec, s[6:7]
	s_cbranch_execz .LBB58_182
; %bb.177:                              ;   in Loop: Header=BB58_133 Depth=2
	v_cmp_nlt_f32_e64 s[4:5], |v25|, |v20|
                                        ; implicit-def: $vgpr26
	s_and_saveexec_b64 s[68:69], s[4:5]
	s_xor_b64 s[4:5], exec, s[68:69]
	s_cbranch_execz .LBB58_179
; %bb.178:                              ;   in Loop: Header=BB58_133 Depth=2
	v_cvt_f64_f32_e32 v[29:30], v24
                                        ; implicit-def: $vgpr24
	v_mul_f64 v[29:30], v[29:30], s[80:81]
	v_cvt_f32_f64_e32 v26, v[29:30]
.LBB58_179:                             ;   in Loop: Header=BB58_133 Depth=2
	s_andn2_saveexec_b64 s[68:69], s[4:5]
	s_cbranch_execz .LBB58_181
; %bb.180:                              ;   in Loop: Header=BB58_133 Depth=2
	v_and_b32_e32 v26, 0x7fffffff, v25
	v_div_scale_f32 v29, s[4:5], v24, v24, v26
	v_div_scale_f32 v24, vcc, v26, v24, v26
	v_rcp_f32_e32 v26, v29
	v_fma_f32 v30, -v29, v26, 1.0
	v_fmac_f32_e32 v26, v30, v26
	v_mul_f32_e32 v30, v24, v26
	v_fma_f32 v31, -v29, v30, v24
	v_fmac_f32_e32 v30, v31, v26
	v_fma_f32 v24, -v29, v30, v24
	v_div_fmas_f32 v24, v24, v26, v30
	v_div_fixup_f32 v24, v24, |v20|, |v25|
	v_fma_f32 v24, v24, v24, 1.0
	v_mul_f32_e32 v26, 0x4f800000, v24
	v_cmp_gt_f32_e32 vcc, s52, v24
	v_cndmask_b32_e32 v24, v24, v26, vcc
	v_sqrt_f32_e32 v26, v24
	v_add_u32_e32 v29, -1, v26
	v_add_u32_e32 v30, 1, v26
	v_fma_f32 v31, -v29, v26, v24
	v_fma_f32 v32, -v30, v26, v24
	v_cmp_ge_f32_e64 s[4:5], 0, v31
	v_cndmask_b32_e64 v26, v26, v29, s[4:5]
	v_cmp_lt_f32_e64 s[4:5], 0, v32
	v_cndmask_b32_e64 v26, v26, v30, s[4:5]
	v_mul_f32_e32 v29, 0x37800000, v26
	v_cndmask_b32_e32 v26, v26, v29, vcc
	v_cmp_class_f32_e32 vcc, v24, v40
	v_cndmask_b32_e32 v24, v26, v24, vcc
	v_mul_f32_e64 v26, |v20|, v24
.LBB58_181:                             ;   in Loop: Header=BB58_133 Depth=2
	s_or_b64 exec, exec, s[68:69]
                                        ; implicit-def: $vgpr24
.LBB58_182:                             ;   in Loop: Header=BB58_133 Depth=2
	s_andn2_saveexec_b64 s[6:7], s[6:7]
	s_cbranch_execz .LBB58_184
; %bb.183:                              ;   in Loop: Header=BB58_133 Depth=2
	v_and_b32_e32 v26, 0x7fffffff, v25
	v_div_scale_f32 v29, s[4:5], v26, v26, v24
	v_div_scale_f32 v24, vcc, v24, v26, v24
	v_rcp_f32_e32 v26, v29
	v_fma_f32 v30, -v29, v26, 1.0
	v_fmac_f32_e32 v26, v30, v26
	v_mul_f32_e32 v30, v24, v26
	v_fma_f32 v31, -v29, v30, v24
	v_fmac_f32_e32 v30, v31, v26
	v_fma_f32 v24, -v29, v30, v24
	v_div_fmas_f32 v24, v24, v26, v30
	v_div_fixup_f32 v24, v24, |v25|, |v20|
	v_fma_f32 v24, v24, v24, 1.0
	v_mul_f32_e32 v26, 0x4f800000, v24
	v_cmp_gt_f32_e32 vcc, s52, v24
	v_cndmask_b32_e32 v24, v24, v26, vcc
	v_sqrt_f32_e32 v26, v24
	v_add_u32_e32 v29, -1, v26
	v_add_u32_e32 v30, 1, v26
	v_fma_f32 v31, -v29, v26, v24
	v_fma_f32 v32, -v30, v26, v24
	v_cmp_ge_f32_e64 s[4:5], 0, v31
	v_cndmask_b32_e64 v26, v26, v29, s[4:5]
	v_cmp_lt_f32_e64 s[4:5], 0, v32
	v_cndmask_b32_e64 v26, v26, v30, s[4:5]
	v_mul_f32_e32 v29, 0x37800000, v26
	v_cndmask_b32_e32 v26, v26, v29, vcc
	v_cmp_class_f32_e32 vcc, v24, v40
	v_cndmask_b32_e32 v24, v26, v24, vcc
	v_mul_f32_e64 v26, |v25|, v24
.LBB58_184:                             ;   in Loop: Header=BB58_133 Depth=2
	s_or_b64 exec, exec, s[6:7]
	v_add_f32_e32 v30, v27, v23
	v_cmp_gt_f32_e64 vcc, |v23|, |v27|
	v_cndmask_b32_e32 v29, v23, v27, vcc
	v_cndmask_b32_e32 v31, v27, v23, vcc
	v_cmp_ngt_f32_e32 vcc, 0, v30
                                        ; implicit-def: $vgpr24
	s_and_saveexec_b64 s[4:5], vcc
	s_xor_b64 s[6:7], exec, s[4:5]
	s_cbranch_execz .LBB58_190
; %bb.185:                              ;   in Loop: Header=BB58_133 Depth=2
	v_cmp_nlt_f32_e32 vcc, 0, v30
                                        ; implicit-def: $vgpr24
	s_and_saveexec_b64 s[4:5], vcc
	s_xor_b64 s[4:5], exec, s[4:5]
; %bb.186:                              ;   in Loop: Header=BB58_133 Depth=2
	v_mul_f32_e32 v23, 0.5, v26
	v_mul_f32_e32 v24, -0.5, v26
                                        ; implicit-def: $vgpr30
                                        ; implicit-def: $vgpr31
                                        ; implicit-def: $vgpr29
                                        ; implicit-def: $vgpr28
; %bb.187:                              ;   in Loop: Header=BB58_133 Depth=2
	s_andn2_saveexec_b64 s[68:69], s[4:5]
	s_cbranch_execz .LBB58_189
; %bb.188:                              ;   in Loop: Header=BB58_133 Depth=2
	v_add_f32_e32 v23, v30, v26
	v_mul_f32_e32 v23, 0.5, v23
	v_cvt_f64_f32_e32 v[30:31], v31
	v_cvt_f64_f32_e32 v[32:33], v23
	;; [unrolled: 1-line block ×3, first 2 shown]
	v_div_scale_f64 v[34:35], s[4:5], v[32:33], v[32:33], v[30:31]
	v_div_scale_f64 v[44:45], s[4:5], v[32:33], v[32:33], v[27:28]
	;; [unrolled: 1-line block ×3, first 2 shown]
	v_rcp_f64_e32 v[46:47], v[34:35]
	v_rcp_f64_e32 v[48:49], v[44:45]
	v_fma_f64 v[50:51], -v[34:35], v[46:47], 1.0
	v_fma_f64 v[52:53], -v[44:45], v[48:49], 1.0
	v_fma_f64 v[46:47], v[46:47], v[50:51], v[46:47]
	v_div_scale_f64 v[50:51], vcc, v[30:31], v[32:33], v[30:31]
	v_fma_f64 v[48:49], v[48:49], v[52:53], v[48:49]
	v_fma_f64 v[52:53], -v[34:35], v[46:47], 1.0
	v_fma_f64 v[56:57], -v[44:45], v[48:49], 1.0
	v_fma_f64 v[46:47], v[46:47], v[52:53], v[46:47]
	v_fma_f64 v[48:49], v[48:49], v[56:57], v[48:49]
	v_mul_f64 v[52:53], v[50:51], v[46:47]
	v_mul_f64 v[56:57], v[54:55], v[48:49]
	v_fma_f64 v[34:35], -v[34:35], v[52:53], v[50:51]
	v_fma_f64 v[44:45], -v[44:45], v[56:57], v[54:55]
	v_div_fmas_f64 v[34:35], v[34:35], v[46:47], v[52:53]
	s_mov_b64 vcc, s[4:5]
	v_div_fmas_f64 v[44:45], v[44:45], v[48:49], v[56:57]
	v_div_fixup_f64 v[30:31], v[34:35], v[32:33], v[30:31]
	v_div_fixup_f64 v[44:45], v[44:45], v[32:33], v[27:28]
	v_cvt_f64_f32_e32 v[32:33], v29
	v_mul_f64 v[27:28], v[44:45], v[27:28]
	v_fma_f64 v[27:28], v[30:31], v[32:33], -v[27:28]
	v_cvt_f32_f64_e32 v24, v[27:28]
.LBB58_189:                             ;   in Loop: Header=BB58_133 Depth=2
	s_or_b64 exec, exec, s[68:69]
                                        ; implicit-def: $vgpr30
                                        ; implicit-def: $vgpr31
                                        ; implicit-def: $vgpr29
                                        ; implicit-def: $vgpr28
.LBB58_190:                             ;   in Loop: Header=BB58_133 Depth=2
	s_or_saveexec_b64 s[6:7], s[6:7]
	v_mov_b32_e32 v27, 1
	s_xor_b64 exec, exec, s[6:7]
	s_cbranch_execz .LBB58_192
; %bb.191:                              ;   in Loop: Header=BB58_133 Depth=2
	v_sub_f32_e32 v23, v30, v26
	v_mul_f32_e32 v23, 0.5, v23
	v_cvt_f64_f32_e32 v[30:31], v31
	v_cvt_f64_f32_e32 v[32:33], v23
	;; [unrolled: 1-line block ×3, first 2 shown]
	v_div_scale_f64 v[34:35], s[4:5], v[32:33], v[32:33], v[30:31]
	v_div_scale_f64 v[44:45], s[4:5], v[32:33], v[32:33], v[27:28]
	;; [unrolled: 1-line block ×3, first 2 shown]
	v_rcp_f64_e32 v[46:47], v[34:35]
	v_rcp_f64_e32 v[48:49], v[44:45]
	v_fma_f64 v[50:51], -v[34:35], v[46:47], 1.0
	v_fma_f64 v[52:53], -v[44:45], v[48:49], 1.0
	v_fma_f64 v[46:47], v[46:47], v[50:51], v[46:47]
	v_div_scale_f64 v[50:51], vcc, v[30:31], v[32:33], v[30:31]
	v_fma_f64 v[48:49], v[48:49], v[52:53], v[48:49]
	v_fma_f64 v[52:53], -v[34:35], v[46:47], 1.0
	v_fma_f64 v[56:57], -v[44:45], v[48:49], 1.0
	v_fma_f64 v[46:47], v[46:47], v[52:53], v[46:47]
	v_fma_f64 v[48:49], v[48:49], v[56:57], v[48:49]
	v_mul_f64 v[52:53], v[50:51], v[46:47]
	v_mul_f64 v[56:57], v[54:55], v[48:49]
	v_fma_f64 v[34:35], -v[34:35], v[52:53], v[50:51]
	v_fma_f64 v[44:45], -v[44:45], v[56:57], v[54:55]
	v_div_fmas_f64 v[34:35], v[34:35], v[46:47], v[52:53]
	s_mov_b64 vcc, s[4:5]
	v_div_fmas_f64 v[44:45], v[44:45], v[48:49], v[56:57]
	v_div_fixup_f64 v[30:31], v[34:35], v[32:33], v[30:31]
	v_div_fixup_f64 v[44:45], v[44:45], v[32:33], v[27:28]
	v_cvt_f64_f32_e32 v[32:33], v29
	v_mul_f64 v[27:28], v[44:45], v[27:28]
	v_fma_f64 v[27:28], v[30:31], v[32:33], -v[27:28]
	v_cvt_f32_f64_e32 v24, v[27:28]
	v_mov_b32_e32 v27, -1
.LBB58_192:                             ;   in Loop: Header=BB58_133 Depth=2
	s_or_b64 exec, exec, s[6:7]
	v_cmp_nle_f32_e64 s[4:5], 0, v25
	v_cndmask_b32_e64 v26, v26, -v26, s[4:5]
	v_add_f32_e32 v25, v25, v26
	v_cmp_ngt_f32_e64 s[6:7], |v25|, |v20|
                                        ; implicit-def: $vgpr26
                                        ; implicit-def: $vgpr28
	s_and_saveexec_b64 s[68:69], s[6:7]
	s_xor_b64 s[68:69], exec, s[68:69]
	s_cbranch_execz .LBB58_196
; %bb.193:                              ;   in Loop: Header=BB58_133 Depth=2
	v_mov_b32_e32 v26, 0
	v_cmp_neq_f32_e32 vcc, 0, v20
	v_mov_b32_e32 v28, 1.0
	s_and_saveexec_b64 s[70:71], vcc
	s_cbranch_execz .LBB58_195
; %bb.194:                              ;   in Loop: Header=BB58_133 Depth=2
	v_div_scale_f32 v26, s[6:7], v20, v20, -v25
	v_div_scale_f32 v28, vcc, -v25, v20, -v25
	v_rcp_f32_e32 v29, v26
	v_fma_f32 v30, -v26, v29, 1.0
	v_fmac_f32_e32 v29, v30, v29
	v_mul_f32_e32 v30, v28, v29
	v_fma_f32 v31, -v26, v30, v28
	v_fmac_f32_e32 v30, v31, v29
	v_fma_f32 v26, -v26, v30, v28
	v_div_fmas_f32 v26, v26, v29, v30
	v_div_fixup_f32 v20, v26, v20, -v25
	v_fma_f32 v25, v20, v20, 1.0
	v_mul_f32_e32 v26, 0x4f800000, v25
	v_cmp_gt_f32_e32 vcc, s52, v25
	v_cndmask_b32_e32 v25, v25, v26, vcc
	v_sqrt_f32_e32 v26, v25
	v_add_u32_e32 v28, -1, v26
	v_add_u32_e32 v29, 1, v26
	v_fma_f32 v30, -v28, v26, v25
	v_fma_f32 v31, -v29, v26, v25
	v_cmp_ge_f32_e64 s[6:7], 0, v30
	v_cndmask_b32_e64 v26, v26, v28, s[6:7]
	v_cmp_lt_f32_e64 s[6:7], 0, v31
	v_cndmask_b32_e64 v26, v26, v29, s[6:7]
	v_mul_f32_e32 v28, 0x37800000, v26
	v_cndmask_b32_e32 v26, v26, v28, vcc
	v_cmp_class_f32_e32 vcc, v25, v40
	v_cndmask_b32_e32 v25, v26, v25, vcc
	v_div_scale_f32 v26, s[6:7], v25, v25, 1.0
	v_div_scale_f32 v28, vcc, 1.0, v25, 1.0
	v_rcp_f32_e32 v29, v26
	v_fma_f32 v30, -v26, v29, 1.0
	v_fmac_f32_e32 v29, v30, v29
	v_mul_f32_e32 v30, v28, v29
	v_fma_f32 v31, -v26, v30, v28
	v_fmac_f32_e32 v30, v31, v29
	v_fma_f32 v26, -v26, v30, v28
	v_div_fmas_f32 v26, v26, v29, v30
	v_div_fixup_f32 v28, v26, v25, 1.0
	v_mul_f32_e32 v26, v20, v28
.LBB58_195:                             ;   in Loop: Header=BB58_133 Depth=2
	s_or_b64 exec, exec, s[70:71]
                                        ; implicit-def: $vgpr25
                                        ; implicit-def: $vgpr20
.LBB58_196:                             ;   in Loop: Header=BB58_133 Depth=2
	s_andn2_saveexec_b64 s[68:69], s[68:69]
	s_cbranch_execz .LBB58_198
; %bb.197:                              ;   in Loop: Header=BB58_133 Depth=2
	v_div_scale_f32 v26, s[6:7], v25, v25, -v20
	v_div_scale_f32 v28, vcc, -v20, v25, -v20
	v_rcp_f32_e32 v29, v26
	v_fma_f32 v30, -v26, v29, 1.0
	v_fmac_f32_e32 v29, v30, v29
	v_mul_f32_e32 v30, v28, v29
	v_fma_f32 v31, -v26, v30, v28
	v_fmac_f32_e32 v30, v31, v29
	v_fma_f32 v26, -v26, v30, v28
	v_div_fmas_f32 v26, v26, v29, v30
	v_div_fixup_f32 v20, v26, v25, -v20
	v_fma_f32 v25, v20, v20, 1.0
	v_mul_f32_e32 v26, 0x4f800000, v25
	v_cmp_gt_f32_e32 vcc, s52, v25
	v_cndmask_b32_e32 v25, v25, v26, vcc
	v_sqrt_f32_e32 v26, v25
	v_add_u32_e32 v28, -1, v26
	v_add_u32_e32 v29, 1, v26
	v_fma_f32 v30, -v28, v26, v25
	v_fma_f32 v31, -v29, v26, v25
	v_cmp_ge_f32_e64 s[6:7], 0, v30
	v_cndmask_b32_e64 v26, v26, v28, s[6:7]
	v_cmp_lt_f32_e64 s[6:7], 0, v31
	v_cndmask_b32_e64 v26, v26, v29, s[6:7]
	v_mul_f32_e32 v28, 0x37800000, v26
	v_cndmask_b32_e32 v26, v26, v28, vcc
	v_cmp_class_f32_e32 vcc, v25, v40
	v_cndmask_b32_e32 v25, v26, v25, vcc
	v_div_scale_f32 v26, s[6:7], v25, v25, 1.0
	v_div_scale_f32 v28, vcc, 1.0, v25, 1.0
	v_rcp_f32_e32 v29, v26
	v_fma_f32 v30, -v26, v29, 1.0
	v_fmac_f32_e32 v29, v30, v29
	v_mul_f32_e32 v30, v28, v29
	v_fma_f32 v31, -v26, v30, v28
	v_fmac_f32_e32 v30, v31, v29
	v_fma_f32 v26, -v26, v30, v28
	v_div_fmas_f32 v26, v26, v29, v30
	v_div_fixup_f32 v26, v26, v25, 1.0
	v_mul_f32_e32 v28, v20, v26
.LBB58_198:                             ;   in Loop: Header=BB58_133 Depth=2
	s_or_b64 exec, exec, s[68:69]
	v_cndmask_b32_e64 v20, 1, -1, s[4:5]
	v_cmp_eq_u32_e32 vcc, v27, v20
	v_cndmask_b32_e64 v20, v28, -v26, vcc
	v_cndmask_b32_e32 v25, v26, v28, vcc
	v_mov_b32_e32 v26, s91
	v_add_co_u32_e32 v18, vcc, s90, v18
	v_addc_co_u32_e32 v19, vcc, v26, v19, vcc
	global_store_dword v[18:19], v20, off
	v_mov_b32_e32 v20, s49
	v_add_co_u32_e32 v18, vcc, s48, v18
	v_addc_co_u32_e32 v19, vcc, v19, v20, vcc
	global_store_dword v[18:19], v25, off offset:-4
	global_store_dwordx2 v[16:17], v[23:24], off offset:-4
	v_mov_b32_e32 v17, s33
	v_add_co_u32_e32 v16, vcc, s14, v21
	v_addc_co_u32_e32 v17, vcc, v17, v22, vcc
	v_add_u32_e32 v15, -2, v15
	global_store_dword v[16:17], v36, off offset:-4
	ds_write_b32 v36, v15
	s_or_b64 exec, exec, s[66:67]
                                        ; implicit-def: $vgpr20
.LBB58_199:                             ;   in Loop: Header=BB58_133 Depth=2
	s_andn2_saveexec_b64 s[4:5], s[64:65]
.LBB58_200:                             ;   in Loop: Header=BB58_133 Depth=2
	ds_write_b32 v36, v20
.LBB58_201:                             ;   in Loop: Header=BB58_133 Depth=2
	s_or_b64 exec, exec, s[4:5]
.LBB58_202:                             ;   in Loop: Header=BB58_133 Depth=2
	s_or_b64 exec, exec, s[8:9]
	s_waitcnt vmcnt(0) lgkmcnt(0)
	s_barrier
	ds_read_b64 v[15:16], v36
	s_waitcnt lgkmcnt(0)
	v_readfirstlane_b32 s6, v16
	v_cmp_eq_u32_e32 vcc, s6, v15
	v_mov_b32_e32 v15, s6
	s_cbranch_vccnz .LBB58_132
; %bb.203:                              ;   in Loop: Header=BB58_133 Depth=2
	s_and_saveexec_b64 s[4:5], s[2:3]
	s_cbranch_execz .LBB58_131
; %bb.204:                              ;   in Loop: Header=BB58_133 Depth=2
	ds_read_b32 v15, v36 offset:16
	s_ashr_i32 s7, s6, 31
	s_lshl_b64 s[64:65], s[6:7], 2
	s_mul_i32 s8, s6, s15
	v_mov_b32_e32 v17, v0
	s_waitcnt lgkmcnt(0)
	v_readfirstlane_b32 s7, v15
	s_sub_i32 s41, s7, s6
	s_add_u32 s6, s90, s64
	s_addc_u32 s7, s91, s65
	s_ashr_i32 s9, s8, 31
	s_lshl_b64 s[64:65], s[8:9], 3
	s_add_u32 s62, s88, s64
	s_addc_u32 s68, s89, s65
	s_cmp_gt_i32 s41, 0
	s_mul_hi_i32 s67, s41, s44
	s_mul_i32 s66, s41, s44
	s_cselect_b64 s[8:9], -1, 0
	s_lshl_b64 s[66:67], s[66:67], 3
	s_add_u32 s69, s62, s66
	v_mov_b32_e32 v16, s65
	v_add_co_u32_e32 v15, vcc, s64, v38
	s_addc_u32 s70, s68, s67
	v_addc_co_u32_e32 v16, vcc, v39, v16, vcc
	s_mov_b64 s[64:65], 0
	s_branch .LBB58_206
.LBB58_205:                             ;   in Loop: Header=BB58_206 Depth=3
	v_mov_b32_e32 v22, s70
	v_add_co_u32_e32 v18, vcc, s69, v18
	v_addc_co_u32_e32 v19, vcc, v22, v19, vcc
	v_add_u32_e32 v17, s34, v17
	v_cmp_le_i32_e32 vcc, s10, v17
	s_waitcnt vmcnt(0)
	global_store_dwordx2 v[18:19], v[20:21], off
	v_mov_b32_e32 v18, s61
	s_or_b64 s[64:65], vcc, s[64:65]
	v_add_co_u32_e32 v15, vcc, s60, v15
	v_addc_co_u32_e32 v16, vcc, v16, v18, vcc
	s_andn2_b64 exec, exec, s[64:65]
	s_cbranch_execz .LBB58_131
.LBB58_206:                             ;   Parent Loop BB58_7 Depth=1
                                        ;     Parent Loop BB58_133 Depth=2
                                        ; =>    This Loop Header: Depth=3
                                        ;         Child Loop BB58_207 Depth 4
	v_ashrrev_i32_e32 v18, 31, v17
	v_lshlrev_b64 v[18:19], 3, v[17:18]
	v_mov_b32_e32 v21, s68
	v_add_co_u32_e32 v20, vcc, s62, v18
	v_addc_co_u32_e32 v21, vcc, v21, v19, vcc
	global_load_dwordx2 v[20:21], v[20:21], off
	v_mov_b32_e32 v23, v16
	s_andn2_b64 vcc, exec, s[8:9]
	s_mov_b64 s[66:67], s[6:7]
	v_mov_b32_e32 v22, v15
	s_mov_b32 s71, s41
	s_cbranch_vccnz .LBB58_205
.LBB58_207:                             ;   Parent Loop BB58_7 Depth=1
                                        ;     Parent Loop BB58_133 Depth=2
                                        ;       Parent Loop BB58_206 Depth=3
                                        ; =>      This Inner Loop Header: Depth=4
	v_mov_b32_e32 v25, s57
	v_add_co_u32_e32 v24, vcc, s56, v22
	s_add_u32 s72, s66, s11
	v_addc_co_u32_e32 v25, vcc, v23, v25, vcc
	s_addc_u32 s73, s67, s58
	global_load_dwordx2 v[26:27], v[24:25], off offset:-4
	global_load_dword v30, v36, s[72:73]
	global_load_dword v31, v36, s[66:67]
	s_add_i32 s71, s71, -1
	s_add_u32 s66, s66, 4
	s_addc_u32 s67, s67, 0
	s_cmp_eq_u32 s71, 0
	s_waitcnt vmcnt(1)
	v_mul_f32_e32 v28, v30, v26
	v_mul_f32_e32 v29, v30, v27
	s_waitcnt vmcnt(0)
	v_fmac_f32_e32 v28, v20, v31
	v_fmac_f32_e32 v29, v21, v31
	v_mul_f32_e32 v32, v20, v30
	v_mul_f32_e32 v30, v21, v30
	global_store_dwordx2 v[22:23], v[28:29], off offset:-4
	v_mov_b32_e32 v22, v24
	v_fma_f32 v20, v31, v26, -v32
	v_fma_f32 v21, v31, v27, -v30
	v_mov_b32_e32 v23, v25
	s_cbranch_scc0 .LBB58_207
	s_branch .LBB58_205
.LBB58_208:                             ;   in Loop: Header=BB58_133 Depth=2
	s_or_b64 exec, exec, s[66:67]
                                        ; implicit-def: $vgpr20
	s_andn2_saveexec_b64 s[4:5], s[64:65]
	s_cbranch_execnz .LBB58_200
	s_branch .LBB58_201
.LBB58_209:                             ;   in Loop: Header=BB58_7 Depth=1
	v_mov_b32_e32 v3, v19
	v_mov_b32_e32 v5, v21
	;; [unrolled: 1-line block ×5, first 2 shown]
.LBB58_210:                             ;   in Loop: Header=BB58_7 Depth=1
	s_barrier
	ds_read_b32 v20, v36 offset:24
	s_waitcnt lgkmcnt(0)
	v_cmp_nlt_f32_e32 vcc, s31, v20
	s_cbranch_vccnz .LBB58_217
; %bb.211:                              ;   in Loop: Header=BB58_7 Depth=1
	v_div_scale_f32 v15, s[4:5], v20, v20, s31
	v_div_scale_f32 v16, vcc, s31, v20, s31
	v_rcp_f32_e32 v17, v15
	v_fma_f32 v18, -v15, v17, 1.0
	v_fmac_f32_e32 v17, v18, v17
	v_mul_f32_e32 v18, v16, v17
	v_fma_f32 v19, -v15, v18, v16
	v_fmac_f32_e32 v18, v19, v17
	v_fma_f32 v15, -v15, v18, v16
	v_div_fmas_f32 v17, v15, v17, v18
	ds_read2_b32 v[15:16], v36 offset0:4 offset1:8
	v_div_fixup_f32 v21, v17, v20, s31
	s_and_saveexec_b64 s[4:5], s[0:1]
	s_cbranch_execz .LBB58_213
; %bb.212:                              ;   in Loop: Header=BB58_7 Depth=1
	s_waitcnt lgkmcnt(0)
	v_ashrrev_i32_e32 v18, 31, v16
	v_mov_b32_e32 v17, v16
	v_lshlrev_b64 v[17:18], 2, v[17:18]
	v_mov_b32_e32 v19, s23
	v_add_co_u32_e32 v17, vcc, s22, v17
	v_addc_co_u32_e32 v18, vcc, v19, v18, vcc
	global_load_dword v19, v[17:18], off
	s_waitcnt vmcnt(0)
	v_mul_f32_e32 v19, v21, v19
	global_store_dword v[17:18], v19, off
.LBB58_213:                             ;   in Loop: Header=BB58_7 Depth=1
	s_or_b64 exec, exec, s[4:5]
	s_waitcnt lgkmcnt(0)
	v_add_u32_e32 v17, v15, v0
	v_cmp_lt_i32_e32 vcc, v17, v16
	s_and_saveexec_b64 s[4:5], vcc
	s_cbranch_execz .LBB58_216
; %bb.214:                              ;   in Loop: Header=BB58_7 Depth=1
	v_ashrrev_i32_e32 v18, 31, v17
	v_lshlrev_b64 v[18:19], 2, v[17:18]
	s_mov_b64 s[6:7], 0
.LBB58_215:                             ;   Parent Loop BB58_7 Depth=1
                                        ; =>  This Inner Loop Header: Depth=2
	v_mov_b32_e32 v15, s23
	v_add_co_u32_e32 v22, vcc, s22, v18
	v_addc_co_u32_e32 v23, vcc, v15, v19, vcc
	global_load_dword v15, v[22:23], off
	v_mov_b32_e32 v25, s33
	v_add_co_u32_e32 v24, vcc, s14, v18
	v_addc_co_u32_e32 v25, vcc, v25, v19, vcc
	v_add_co_u32_e32 v18, vcc, s46, v18
	v_add_u32_e32 v17, s34, v17
	s_waitcnt vmcnt(0)
	v_mul_f32_e32 v15, v21, v15
	global_store_dword v[22:23], v15, off
	global_load_dword v15, v[24:25], off
	v_mov_b32_e32 v22, s47
	v_addc_co_u32_e32 v19, vcc, v19, v22, vcc
	v_cmp_ge_i32_e32 vcc, v17, v16
	s_or_b64 s[6:7], vcc, s[6:7]
	s_waitcnt vmcnt(0)
	v_mul_f32_e32 v15, v21, v15
	global_store_dword v[24:25], v15, off
	s_andn2_b64 exec, exec, s[6:7]
	s_cbranch_execnz .LBB58_215
.LBB58_216:                             ;   in Loop: Header=BB58_7 Depth=1
	s_or_b64 exec, exec, s[4:5]
.LBB58_217:                             ;   in Loop: Header=BB58_7 Depth=1
	v_cmp_ngt_f32_e32 vcc, s30, v20
	s_cbranch_vccnz .LBB58_5
; %bb.218:                              ;   in Loop: Header=BB58_7 Depth=1
	v_div_scale_f32 v15, s[4:5], v20, v20, s30
	v_div_scale_f32 v16, vcc, s30, v20, s30
	v_rcp_f32_e32 v17, v15
	v_fma_f32 v18, -v15, v17, 1.0
	v_fmac_f32_e32 v17, v18, v17
	v_mul_f32_e32 v18, v16, v17
	v_fma_f32 v19, -v15, v18, v16
	v_fmac_f32_e32 v18, v19, v17
	v_fma_f32 v15, -v15, v18, v16
	v_div_fmas_f32 v17, v15, v17, v18
	ds_read2_b32 v[15:16], v36 offset0:4 offset1:8
	v_div_fixup_f32 v20, v17, v20, s30
	s_and_saveexec_b64 s[4:5], s[0:1]
	s_cbranch_execz .LBB58_220
; %bb.219:                              ;   in Loop: Header=BB58_7 Depth=1
	s_waitcnt lgkmcnt(0)
	v_ashrrev_i32_e32 v18, 31, v16
	v_mov_b32_e32 v17, v16
	v_lshlrev_b64 v[17:18], 2, v[17:18]
	v_mov_b32_e32 v19, s23
	v_add_co_u32_e32 v17, vcc, s22, v17
	v_addc_co_u32_e32 v18, vcc, v19, v18, vcc
	global_load_dword v19, v[17:18], off
	s_waitcnt vmcnt(0)
	v_mul_f32_e32 v19, v20, v19
	global_store_dword v[17:18], v19, off
.LBB58_220:                             ;   in Loop: Header=BB58_7 Depth=1
	s_or_b64 exec, exec, s[4:5]
	s_waitcnt lgkmcnt(0)
	v_add_u32_e32 v17, v15, v0
	v_cmp_lt_i32_e32 vcc, v17, v16
	s_and_saveexec_b64 s[4:5], vcc
	s_cbranch_execz .LBB58_4
; %bb.221:                              ;   in Loop: Header=BB58_7 Depth=1
	v_ashrrev_i32_e32 v18, 31, v17
	v_lshlrev_b64 v[18:19], 2, v[17:18]
	s_mov_b64 s[6:7], 0
.LBB58_222:                             ;   Parent Loop BB58_7 Depth=1
                                        ; =>  This Inner Loop Header: Depth=2
	v_mov_b32_e32 v15, s23
	v_add_co_u32_e32 v21, vcc, s22, v18
	v_addc_co_u32_e32 v22, vcc, v15, v19, vcc
	global_load_dword v15, v[21:22], off
	v_mov_b32_e32 v24, s33
	v_add_co_u32_e32 v23, vcc, s14, v18
	v_addc_co_u32_e32 v24, vcc, v24, v19, vcc
	v_add_co_u32_e32 v18, vcc, s46, v18
	v_add_u32_e32 v17, s34, v17
	s_waitcnt vmcnt(0)
	v_mul_f32_e32 v15, v20, v15
	global_store_dword v[21:22], v15, off
	global_load_dword v15, v[23:24], off
	v_mov_b32_e32 v21, s47
	v_addc_co_u32_e32 v19, vcc, v19, v21, vcc
	v_cmp_ge_i32_e32 vcc, v17, v16
	s_or_b64 s[6:7], vcc, s[6:7]
	s_waitcnt vmcnt(0)
	v_mul_f32_e32 v15, v20, v15
	global_store_dword v[23:24], v15, off
	s_andn2_b64 exec, exec, s[6:7]
	s_cbranch_execnz .LBB58_222
	s_branch .LBB58_4
.LBB58_223:
	v_cmp_gt_i32_e32 vcc, s40, v0
	s_and_saveexec_b64 s[2:3], vcc
	s_cbranch_execz .LBB58_229
; %bb.224:
	s_lshl_b64 s[4:5], s[38:39], 2
	s_add_u32 s4, s18, s4
	s_addc_u32 s5, s19, s5
	s_lshl_b64 s[6:7], s[42:43], 2
	v_ashrrev_i32_e32 v1, 31, v0
	v_lshlrev_b64 v[1:2], 2, v[0:1]
	s_add_u32 s6, s24, s6
	s_addc_u32 s7, s25, s7
	s_ashr_i32 s35, s34, 31
	v_mov_b32_e32 v3, s7
	v_add_co_u32_e32 v1, vcc, s6, v1
	s_lshl_b64 s[6:7], s[34:35], 2
	v_addc_co_u32_e32 v2, vcc, v3, v2, vcc
	s_mov_b64 s[8:9], 0
	v_mov_b32_e32 v3, 0
	v_mov_b32_e32 v4, s7
	s_branch .LBB58_226
.LBB58_225:                             ;   in Loop: Header=BB58_226 Depth=1
	s_or_b64 exec, exec, s[18:19]
	v_add_u32_e32 v0, s34, v0
	v_cmp_le_i32_e32 vcc, s40, v0
	s_or_b64 s[8:9], vcc, s[8:9]
	v_add_co_u32_e32 v1, vcc, s6, v1
	v_addc_co_u32_e32 v2, vcc, v2, v4, vcc
	s_andn2_b64 exec, exec, s[8:9]
	s_cbranch_execz .LBB58_229
.LBB58_226:                             ; =>This Inner Loop Header: Depth=1
	global_load_dword v5, v[1:2], off
	s_waitcnt vmcnt(0)
	v_cmp_neq_f32_e32 vcc, 0, v5
	s_and_saveexec_b64 s[18:19], vcc
	s_cbranch_execz .LBB58_225
; %bb.227:                              ;   in Loop: Header=BB58_226 Depth=1
	s_mov_b64 s[24:25], exec
	v_mbcnt_lo_u32_b32 v5, s24, 0
	v_mbcnt_hi_u32_b32 v5, s25, v5
	v_cmp_eq_u32_e32 vcc, 0, v5
	s_and_b64 s[28:29], exec, vcc
	s_mov_b64 exec, s[28:29]
	s_cbranch_execz .LBB58_225
; %bb.228:                              ;   in Loop: Header=BB58_226 Depth=1
	s_bcnt1_i32_b64 s7, s[24:25]
	v_mov_b32_e32 v5, s7
	global_atomic_add v3, v5, s[4:5]
	s_branch .LBB58_225
.LBB58_229:
	s_or_b64 exec, exec, s[2:3]
	s_cmp_lt_i32 s10, 2
	s_cbranch_scc1 .LBB58_242
; %bb.230:
	s_add_u32 s2, s20, s36
	s_addc_u32 s3, s21, s37
	s_add_u32 s2, s2, 4
	s_addc_u32 s3, s3, 0
	s_lshl_b64 s[4:5], s[16:17], 3
	s_lshl_b64 s[6:7], s[26:27], 3
	s_add_u32 s4, s4, s6
	s_addc_u32 s5, s5, s7
	s_add_u32 s11, s12, s4
	s_addc_u32 s14, s13, s5
	s_mov_b32 s4, 1
	v_mov_b32_e32 v0, 0
	s_branch .LBB58_232
.LBB58_231:                             ;   in Loop: Header=BB58_232 Depth=1
	s_add_i32 s4, s4, 1
	s_add_u32 s2, s2, 4
	s_addc_u32 s3, s3, 0
	s_cmp_lg_u32 s4, s10
	s_waitcnt vmcnt(0)
	s_barrier
	s_cbranch_scc0 .LBB58_242
.LBB58_232:                             ; =>This Loop Header: Depth=1
                                        ;     Child Loop BB58_235 Depth 2
                                        ;     Child Loop BB58_241 Depth 2
	s_and_saveexec_b64 s[6:7], s[0:1]
	s_cbranch_execz .LBB58_239
; %bb.233:                              ;   in Loop: Header=BB58_232 Depth=1
	s_ashr_i32 s5, s4, 31
	s_add_i32 s13, s4, -1
	s_lshl_b64 s[8:9], s[4:5], 2
	s_add_u32 s8, s22, s8
	s_addc_u32 s9, s23, s9
	global_load_dword v1, v0, s[8:9] offset:-4
	v_mov_b32_e32 v2, s13
	v_mov_b32_e32 v3, s13
	s_mov_b64 s[16:17], s[2:3]
	s_mov_b32 s5, s4
	s_mov_b32 s12, s13
	ds_write_b64 v0, v[2:3]
	s_waitcnt vmcnt(0)
	ds_write_b32 v0, v1 offset:8
	v_mov_b32_e32 v2, v1
	s_branch .LBB58_235
.LBB58_234:                             ;   in Loop: Header=BB58_235 Depth=2
	s_add_i32 s5, s5, 1
	s_add_u32 s16, s16, 4
	s_addc_u32 s17, s17, 0
	s_cmp_eq_u32 s10, s5
	s_cbranch_scc1 .LBB58_237
.LBB58_235:                             ;   Parent Loop BB58_232 Depth=1
                                        ; =>  This Inner Loop Header: Depth=2
	global_load_dword v3, v0, s[16:17]
	s_waitcnt vmcnt(0)
	v_cmp_nlt_f32_e32 vcc, v3, v2
	s_cbranch_vccnz .LBB58_234
; %bb.236:                              ;   in Loop: Header=BB58_235 Depth=2
	v_mov_b32_e32 v2, s5
	ds_write2_b32 v0, v2, v3 offset0:1 offset1:2
	s_mov_b32 s12, s5
	v_mov_b32_e32 v2, v3
	s_branch .LBB58_234
.LBB58_237:                             ;   in Loop: Header=BB58_232 Depth=1
	s_cmp_lg_u32 s12, s13
	s_cbranch_scc0 .LBB58_239
; %bb.238:                              ;   in Loop: Header=BB58_232 Depth=1
	s_ashr_i32 s13, s12, 31
	s_lshl_b64 s[12:13], s[12:13], 2
	s_add_u32 s12, s22, s12
	s_addc_u32 s13, s23, s13
	global_store_dword v0, v1, s[12:13]
	global_store_dword v0, v2, s[8:9] offset:-4
.LBB58_239:                             ;   in Loop: Header=BB58_232 Depth=1
	s_or_b64 exec, exec, s[6:7]
	s_waitcnt vmcnt(0) lgkmcnt(0)
	s_barrier
	ds_read_b64 v[1:2], v0
	s_waitcnt lgkmcnt(0)
	v_readfirstlane_b32 s5, v1
	v_readfirstlane_b32 s6, v2
	s_cmp_eq_u32 s6, s5
	s_cbranch_scc1 .LBB58_231
; %bb.240:                              ;   in Loop: Header=BB58_232 Depth=1
	s_mul_i32 s6, s6, s15
	s_ashr_i32 s7, s6, 31
	s_lshl_b64 s[6:7], s[6:7], 3
	s_mul_i32 s8, s5, s15
	s_add_u32 s6, s11, s6
	s_addc_u32 s7, s14, s7
	s_ashr_i32 s9, s8, 31
	s_lshl_b64 s[8:9], s[8:9], 3
	s_add_u32 s8, s11, s8
	s_addc_u32 s9, s14, s9
	s_mov_b32 s5, s10
.LBB58_241:                             ;   Parent Loop BB58_232 Depth=1
                                        ; =>  This Inner Loop Header: Depth=2
	global_load_dwordx2 v[1:2], v0, s[6:7]
	global_load_dwordx2 v[3:4], v0, s[8:9]
	s_add_i32 s5, s5, -1
	s_waitcnt vmcnt(1)
	global_store_dwordx2 v0, v[1:2], s[8:9]
	s_waitcnt vmcnt(1)
	global_store_dwordx2 v0, v[3:4], s[6:7]
	s_add_u32 s6, s6, 8
	s_addc_u32 s7, s7, 0
	s_add_u32 s8, s8, 8
	s_addc_u32 s9, s9, 0
	s_cmp_lg_u32 s5, 0
	s_cbranch_scc1 .LBB58_241
	s_branch .LBB58_231
.LBB58_242:
	s_endpgm
	.section	.rodata,"a",@progbits
	.p2align	6, 0x0
	.amdhsa_kernel _ZN9rocsolver6v33100L12steqr_kernelI19rocblas_complex_numIfEfPS3_EEviPT0_lS6_lT1_iilPiS6_iS5_S5_S5_
		.amdhsa_group_segment_fixed_size 36
		.amdhsa_private_segment_fixed_size 0
		.amdhsa_kernarg_size 352
		.amdhsa_user_sgpr_count 6
		.amdhsa_user_sgpr_private_segment_buffer 1
		.amdhsa_user_sgpr_dispatch_ptr 0
		.amdhsa_user_sgpr_queue_ptr 0
		.amdhsa_user_sgpr_kernarg_segment_ptr 1
		.amdhsa_user_sgpr_dispatch_id 0
		.amdhsa_user_sgpr_flat_scratch_init 0
		.amdhsa_user_sgpr_private_segment_size 0
		.amdhsa_uses_dynamic_stack 0
		.amdhsa_system_sgpr_private_segment_wavefront_offset 0
		.amdhsa_system_sgpr_workgroup_id_x 1
		.amdhsa_system_sgpr_workgroup_id_y 1
		.amdhsa_system_sgpr_workgroup_id_z 0
		.amdhsa_system_sgpr_workgroup_info 0
		.amdhsa_system_vgpr_workitem_id 0
		.amdhsa_next_free_vgpr 61
		.amdhsa_next_free_sgpr 96
		.amdhsa_reserve_vcc 1
		.amdhsa_reserve_flat_scratch 0
		.amdhsa_float_round_mode_32 0
		.amdhsa_float_round_mode_16_64 0
		.amdhsa_float_denorm_mode_32 3
		.amdhsa_float_denorm_mode_16_64 3
		.amdhsa_dx10_clamp 1
		.amdhsa_ieee_mode 1
		.amdhsa_fp16_overflow 0
		.amdhsa_exception_fp_ieee_invalid_op 0
		.amdhsa_exception_fp_denorm_src 0
		.amdhsa_exception_fp_ieee_div_zero 0
		.amdhsa_exception_fp_ieee_overflow 0
		.amdhsa_exception_fp_ieee_underflow 0
		.amdhsa_exception_fp_ieee_inexact 0
		.amdhsa_exception_int_div_zero 0
	.end_amdhsa_kernel
	.section	.text._ZN9rocsolver6v33100L12steqr_kernelI19rocblas_complex_numIfEfPS3_EEviPT0_lS6_lT1_iilPiS6_iS5_S5_S5_,"axG",@progbits,_ZN9rocsolver6v33100L12steqr_kernelI19rocblas_complex_numIfEfPS3_EEviPT0_lS6_lT1_iilPiS6_iS5_S5_S5_,comdat
.Lfunc_end58:
	.size	_ZN9rocsolver6v33100L12steqr_kernelI19rocblas_complex_numIfEfPS3_EEviPT0_lS6_lT1_iilPiS6_iS5_S5_S5_, .Lfunc_end58-_ZN9rocsolver6v33100L12steqr_kernelI19rocblas_complex_numIfEfPS3_EEviPT0_lS6_lT1_iilPiS6_iS5_S5_S5_
                                        ; -- End function
	.set _ZN9rocsolver6v33100L12steqr_kernelI19rocblas_complex_numIfEfPS3_EEviPT0_lS6_lT1_iilPiS6_iS5_S5_S5_.num_vgpr, 61
	.set _ZN9rocsolver6v33100L12steqr_kernelI19rocblas_complex_numIfEfPS3_EEviPT0_lS6_lT1_iilPiS6_iS5_S5_S5_.num_agpr, 0
	.set _ZN9rocsolver6v33100L12steqr_kernelI19rocblas_complex_numIfEfPS3_EEviPT0_lS6_lT1_iilPiS6_iS5_S5_S5_.numbered_sgpr, 96
	.set _ZN9rocsolver6v33100L12steqr_kernelI19rocblas_complex_numIfEfPS3_EEviPT0_lS6_lT1_iilPiS6_iS5_S5_S5_.num_named_barrier, 0
	.set _ZN9rocsolver6v33100L12steqr_kernelI19rocblas_complex_numIfEfPS3_EEviPT0_lS6_lT1_iilPiS6_iS5_S5_S5_.private_seg_size, 0
	.set _ZN9rocsolver6v33100L12steqr_kernelI19rocblas_complex_numIfEfPS3_EEviPT0_lS6_lT1_iilPiS6_iS5_S5_S5_.uses_vcc, 1
	.set _ZN9rocsolver6v33100L12steqr_kernelI19rocblas_complex_numIfEfPS3_EEviPT0_lS6_lT1_iilPiS6_iS5_S5_S5_.uses_flat_scratch, 0
	.set _ZN9rocsolver6v33100L12steqr_kernelI19rocblas_complex_numIfEfPS3_EEviPT0_lS6_lT1_iilPiS6_iS5_S5_S5_.has_dyn_sized_stack, 0
	.set _ZN9rocsolver6v33100L12steqr_kernelI19rocblas_complex_numIfEfPS3_EEviPT0_lS6_lT1_iilPiS6_iS5_S5_S5_.has_recursion, 0
	.set _ZN9rocsolver6v33100L12steqr_kernelI19rocblas_complex_numIfEfPS3_EEviPT0_lS6_lT1_iilPiS6_iS5_S5_S5_.has_indirect_call, 0
	.section	.AMDGPU.csdata,"",@progbits
; Kernel info:
; codeLenInByte = 13100
; TotalNumSgprs: 100
; NumVgprs: 61
; ScratchSize: 0
; MemoryBound: 0
; FloatMode: 240
; IeeeMode: 1
; LDSByteSize: 36 bytes/workgroup (compile time only)
; SGPRBlocks: 12
; VGPRBlocks: 15
; NumSGPRsForWavesPerEU: 100
; NumVGPRsForWavesPerEU: 61
; Occupancy: 4
; WaveLimiterHint : 0
; COMPUTE_PGM_RSRC2:SCRATCH_EN: 0
; COMPUTE_PGM_RSRC2:USER_SGPR: 6
; COMPUTE_PGM_RSRC2:TRAP_HANDLER: 0
; COMPUTE_PGM_RSRC2:TGID_X_EN: 1
; COMPUTE_PGM_RSRC2:TGID_Y_EN: 1
; COMPUTE_PGM_RSRC2:TGID_Z_EN: 0
; COMPUTE_PGM_RSRC2:TIDIG_COMP_CNT: 0
	.section	.text._ZN9rocsolver6v33100L8copy_matI19rocblas_complex_numIfEfLb0EPS3_TnNSt9enable_ifIX18rocblas_is_complexIT_EEiE4typeELi0EEEvNS0_17copymat_directionEiiT2_iilPT0_13rocblas_fill_17rocblas_diagonal_,"axG",@progbits,_ZN9rocsolver6v33100L8copy_matI19rocblas_complex_numIfEfLb0EPS3_TnNSt9enable_ifIX18rocblas_is_complexIT_EEiE4typeELi0EEEvNS0_17copymat_directionEiiT2_iilPT0_13rocblas_fill_17rocblas_diagonal_,comdat
	.globl	_ZN9rocsolver6v33100L8copy_matI19rocblas_complex_numIfEfLb0EPS3_TnNSt9enable_ifIX18rocblas_is_complexIT_EEiE4typeELi0EEEvNS0_17copymat_directionEiiT2_iilPT0_13rocblas_fill_17rocblas_diagonal_ ; -- Begin function _ZN9rocsolver6v33100L8copy_matI19rocblas_complex_numIfEfLb0EPS3_TnNSt9enable_ifIX18rocblas_is_complexIT_EEiE4typeELi0EEEvNS0_17copymat_directionEiiT2_iilPT0_13rocblas_fill_17rocblas_diagonal_
	.p2align	8
	.type	_ZN9rocsolver6v33100L8copy_matI19rocblas_complex_numIfEfLb0EPS3_TnNSt9enable_ifIX18rocblas_is_complexIT_EEiE4typeELi0EEEvNS0_17copymat_directionEiiT2_iilPT0_13rocblas_fill_17rocblas_diagonal_,@function
_ZN9rocsolver6v33100L8copy_matI19rocblas_complex_numIfEfLb0EPS3_TnNSt9enable_ifIX18rocblas_is_complexIT_EEiE4typeELi0EEEvNS0_17copymat_directionEiiT2_iilPT0_13rocblas_fill_17rocblas_diagonal_: ; @_ZN9rocsolver6v33100L8copy_matI19rocblas_complex_numIfEfLb0EPS3_TnNSt9enable_ifIX18rocblas_is_complexIT_EEiE4typeELi0EEEvNS0_17copymat_directionEiiT2_iilPT0_13rocblas_fill_17rocblas_diagonal_
; %bb.0:
	s_load_dwordx4 s[12:15], s[4:5], 0x0
	s_load_dword s0, s[4:5], 0x44
	s_waitcnt lgkmcnt(0)
	s_lshr_b32 s1, s0, 16
	s_and_b32 s0, s0, 0xffff
	s_mul_i32 s7, s7, s1
	s_mul_i32 s6, s6, s0
	v_add_u32_e32 v4, s7, v1
	v_add_u32_e32 v0, s6, v0
	v_cmp_gt_u32_e32 vcc, s13, v0
	v_cmp_gt_u32_e64 s[0:1], s14, v4
	s_and_b64 s[0:1], s[0:1], vcc
	s_and_saveexec_b64 s[2:3], s[0:1]
	s_cbranch_execz .LBB59_16
; %bb.1:
	s_load_dwordx2 s[2:3], s[4:5], 0x30
	s_mov_b32 s9, s13
	s_waitcnt lgkmcnt(0)
	s_cmpk_lt_i32 s2, 0x7a
	s_cbranch_scc1 .LBB59_4
; %bb.2:
	s_cmpk_gt_i32 s2, 0x7a
	s_cbranch_scc0 .LBB59_5
; %bb.3:
	s_cmpk_lg_i32 s2, 0x7b
	s_mov_b64 s[6:7], -1
	s_cselect_b64 s[10:11], -1, 0
	s_cbranch_execz .LBB59_6
	s_branch .LBB59_7
.LBB59_4:
	s_mov_b64 s[10:11], 0
	s_mov_b64 s[6:7], 0
	s_cbranch_execnz .LBB59_8
	s_branch .LBB59_10
.LBB59_5:
	s_mov_b64 s[6:7], 0
	s_mov_b64 s[10:11], 0
.LBB59_6:
	v_cmp_gt_u32_e32 vcc, v0, v4
	v_cmp_le_u32_e64 s[0:1], v0, v4
	s_andn2_b64 s[6:7], s[6:7], exec
	s_and_b64 s[16:17], vcc, exec
	s_andn2_b64 s[10:11], s[10:11], exec
	s_and_b64 s[0:1], s[0:1], exec
	s_or_b64 s[6:7], s[6:7], s[16:17]
	s_or_b64 s[10:11], s[10:11], s[0:1]
.LBB59_7:
	s_branch .LBB59_10
.LBB59_8:
	s_cmpk_eq_i32 s2, 0x79
	s_mov_b64 s[10:11], -1
	s_cbranch_scc0 .LBB59_10
; %bb.9:
	v_cmp_gt_u32_e32 vcc, v4, v0
	v_cmp_le_u32_e64 s[0:1], v4, v0
	s_andn2_b64 s[6:7], s[6:7], exec
	s_and_b64 s[10:11], vcc, exec
	s_or_b64 s[6:7], s[6:7], s[10:11]
	s_orn2_b64 s[10:11], s[0:1], exec
.LBB59_10:
	s_and_saveexec_b64 s[0:1], s[10:11]
; %bb.11:
	s_cmpk_eq_i32 s3, 0x83
	s_cselect_b64 s[2:3], -1, 0
	v_cmp_eq_u32_e32 vcc, v0, v4
	s_and_b64 s[2:3], s[2:3], vcc
	s_andn2_b64 s[6:7], s[6:7], exec
	s_and_b64 s[2:3], s[2:3], exec
	s_or_b64 s[6:7], s[6:7], s[2:3]
; %bb.12:
	s_or_b64 exec, exec, s[0:1]
	s_and_b64 exec, exec, s[6:7]
	s_cbranch_execz .LBB59_16
; %bb.13:
	s_load_dwordx8 s[16:23], s[4:5], 0x10
	s_ashr_i32 s4, s13, 31
	s_ashr_i32 s5, s14, 31
	s_mul_i32 s4, s4, s8
	s_waitcnt lgkmcnt(0)
	s_mul_i32 s2, s21, s8
	s_mul_hi_u32 s3, s20, s8
	s_add_i32 s3, s3, s2
	s_mul_i32 s2, s20, s8
	s_ashr_i32 s1, s18, 31
	s_lshl_b64 s[2:3], s[2:3], 3
	s_mov_b32 s0, s18
	s_add_u32 s2, s16, s2
	s_addc_u32 s3, s17, s3
	s_lshl_b64 s[0:1], s[0:1], 3
	s_add_u32 s6, s2, s0
	s_mul_hi_u32 s0, s13, s8
	s_mul_i32 s2, s13, s8
	s_addc_u32 s7, s3, s1
	s_add_i32 s0, s0, s4
	s_mul_i32 s1, s2, s5
	v_mad_u64_u32 v[2:3], s[4:5], v4, s19, v[0:1]
	s_mul_hi_u32 s3, s2, s14
	s_add_i32 s1, s3, s1
	s_mul_i32 s0, s0, s14
	s_add_i32 s1, s1, s0
	s_mul_i32 s0, s2, s14
	v_mov_b32_e32 v3, 0
	s_lshl_b64 s[0:1], s[0:1], 2
	v_lshlrev_b64 v[1:2], 3, v[2:3]
	s_add_u32 s2, s22, s0
	s_addc_u32 s3, s23, s1
	v_mov_b32_e32 v5, s7
	v_add_co_u32_e32 v1, vcc, s6, v1
	s_cmp_lg_u32 s12, 0
	v_addc_co_u32_e32 v2, vcc, v5, v2, vcc
	s_cbranch_scc0 .LBB59_17
; %bb.14:
	v_mad_u64_u32 v[5:6], s[0:1], v4, s9, v[0:1]
	v_mov_b32_e32 v6, v3
	v_mov_b32_e32 v7, s3
	v_lshlrev_b64 v[5:6], 2, v[5:6]
	v_add_co_u32_e32 v5, vcc, s2, v5
	v_addc_co_u32_e32 v6, vcc, v7, v6, vcc
	global_load_dword v3, v[5:6], off
	s_waitcnt vmcnt(0)
	global_store_dword v[1:2], v3, off offset:4
	s_cbranch_execnz .LBB59_16
.LBB59_15:
	global_load_dword v2, v[1:2], off offset:4
	v_mad_u64_u32 v[0:1], s[0:1], v4, s9, v[0:1]
	v_mov_b32_e32 v1, 0
	v_mov_b32_e32 v3, s3
	v_lshlrev_b64 v[0:1], 2, v[0:1]
	v_add_co_u32_e32 v0, vcc, s2, v0
	v_addc_co_u32_e32 v1, vcc, v3, v1, vcc
	s_waitcnt vmcnt(0)
	global_store_dword v[0:1], v2, off
.LBB59_16:
	s_endpgm
.LBB59_17:
	s_branch .LBB59_15
	.section	.rodata,"a",@progbits
	.p2align	6, 0x0
	.amdhsa_kernel _ZN9rocsolver6v33100L8copy_matI19rocblas_complex_numIfEfLb0EPS3_TnNSt9enable_ifIX18rocblas_is_complexIT_EEiE4typeELi0EEEvNS0_17copymat_directionEiiT2_iilPT0_13rocblas_fill_17rocblas_diagonal_
		.amdhsa_group_segment_fixed_size 0
		.amdhsa_private_segment_fixed_size 0
		.amdhsa_kernarg_size 312
		.amdhsa_user_sgpr_count 6
		.amdhsa_user_sgpr_private_segment_buffer 1
		.amdhsa_user_sgpr_dispatch_ptr 0
		.amdhsa_user_sgpr_queue_ptr 0
		.amdhsa_user_sgpr_kernarg_segment_ptr 1
		.amdhsa_user_sgpr_dispatch_id 0
		.amdhsa_user_sgpr_flat_scratch_init 0
		.amdhsa_user_sgpr_private_segment_size 0
		.amdhsa_uses_dynamic_stack 0
		.amdhsa_system_sgpr_private_segment_wavefront_offset 0
		.amdhsa_system_sgpr_workgroup_id_x 1
		.amdhsa_system_sgpr_workgroup_id_y 1
		.amdhsa_system_sgpr_workgroup_id_z 1
		.amdhsa_system_sgpr_workgroup_info 0
		.amdhsa_system_vgpr_workitem_id 1
		.amdhsa_next_free_vgpr 8
		.amdhsa_next_free_sgpr 24
		.amdhsa_reserve_vcc 1
		.amdhsa_reserve_flat_scratch 0
		.amdhsa_float_round_mode_32 0
		.amdhsa_float_round_mode_16_64 0
		.amdhsa_float_denorm_mode_32 3
		.amdhsa_float_denorm_mode_16_64 3
		.amdhsa_dx10_clamp 1
		.amdhsa_ieee_mode 1
		.amdhsa_fp16_overflow 0
		.amdhsa_exception_fp_ieee_invalid_op 0
		.amdhsa_exception_fp_denorm_src 0
		.amdhsa_exception_fp_ieee_div_zero 0
		.amdhsa_exception_fp_ieee_overflow 0
		.amdhsa_exception_fp_ieee_underflow 0
		.amdhsa_exception_fp_ieee_inexact 0
		.amdhsa_exception_int_div_zero 0
	.end_amdhsa_kernel
	.section	.text._ZN9rocsolver6v33100L8copy_matI19rocblas_complex_numIfEfLb0EPS3_TnNSt9enable_ifIX18rocblas_is_complexIT_EEiE4typeELi0EEEvNS0_17copymat_directionEiiT2_iilPT0_13rocblas_fill_17rocblas_diagonal_,"axG",@progbits,_ZN9rocsolver6v33100L8copy_matI19rocblas_complex_numIfEfLb0EPS3_TnNSt9enable_ifIX18rocblas_is_complexIT_EEiE4typeELi0EEEvNS0_17copymat_directionEiiT2_iilPT0_13rocblas_fill_17rocblas_diagonal_,comdat
.Lfunc_end59:
	.size	_ZN9rocsolver6v33100L8copy_matI19rocblas_complex_numIfEfLb0EPS3_TnNSt9enable_ifIX18rocblas_is_complexIT_EEiE4typeELi0EEEvNS0_17copymat_directionEiiT2_iilPT0_13rocblas_fill_17rocblas_diagonal_, .Lfunc_end59-_ZN9rocsolver6v33100L8copy_matI19rocblas_complex_numIfEfLb0EPS3_TnNSt9enable_ifIX18rocblas_is_complexIT_EEiE4typeELi0EEEvNS0_17copymat_directionEiiT2_iilPT0_13rocblas_fill_17rocblas_diagonal_
                                        ; -- End function
	.set _ZN9rocsolver6v33100L8copy_matI19rocblas_complex_numIfEfLb0EPS3_TnNSt9enable_ifIX18rocblas_is_complexIT_EEiE4typeELi0EEEvNS0_17copymat_directionEiiT2_iilPT0_13rocblas_fill_17rocblas_diagonal_.num_vgpr, 8
	.set _ZN9rocsolver6v33100L8copy_matI19rocblas_complex_numIfEfLb0EPS3_TnNSt9enable_ifIX18rocblas_is_complexIT_EEiE4typeELi0EEEvNS0_17copymat_directionEiiT2_iilPT0_13rocblas_fill_17rocblas_diagonal_.num_agpr, 0
	.set _ZN9rocsolver6v33100L8copy_matI19rocblas_complex_numIfEfLb0EPS3_TnNSt9enable_ifIX18rocblas_is_complexIT_EEiE4typeELi0EEEvNS0_17copymat_directionEiiT2_iilPT0_13rocblas_fill_17rocblas_diagonal_.numbered_sgpr, 24
	.set _ZN9rocsolver6v33100L8copy_matI19rocblas_complex_numIfEfLb0EPS3_TnNSt9enable_ifIX18rocblas_is_complexIT_EEiE4typeELi0EEEvNS0_17copymat_directionEiiT2_iilPT0_13rocblas_fill_17rocblas_diagonal_.num_named_barrier, 0
	.set _ZN9rocsolver6v33100L8copy_matI19rocblas_complex_numIfEfLb0EPS3_TnNSt9enable_ifIX18rocblas_is_complexIT_EEiE4typeELi0EEEvNS0_17copymat_directionEiiT2_iilPT0_13rocblas_fill_17rocblas_diagonal_.private_seg_size, 0
	.set _ZN9rocsolver6v33100L8copy_matI19rocblas_complex_numIfEfLb0EPS3_TnNSt9enable_ifIX18rocblas_is_complexIT_EEiE4typeELi0EEEvNS0_17copymat_directionEiiT2_iilPT0_13rocblas_fill_17rocblas_diagonal_.uses_vcc, 1
	.set _ZN9rocsolver6v33100L8copy_matI19rocblas_complex_numIfEfLb0EPS3_TnNSt9enable_ifIX18rocblas_is_complexIT_EEiE4typeELi0EEEvNS0_17copymat_directionEiiT2_iilPT0_13rocblas_fill_17rocblas_diagonal_.uses_flat_scratch, 0
	.set _ZN9rocsolver6v33100L8copy_matI19rocblas_complex_numIfEfLb0EPS3_TnNSt9enable_ifIX18rocblas_is_complexIT_EEiE4typeELi0EEEvNS0_17copymat_directionEiiT2_iilPT0_13rocblas_fill_17rocblas_diagonal_.has_dyn_sized_stack, 0
	.set _ZN9rocsolver6v33100L8copy_matI19rocblas_complex_numIfEfLb0EPS3_TnNSt9enable_ifIX18rocblas_is_complexIT_EEiE4typeELi0EEEvNS0_17copymat_directionEiiT2_iilPT0_13rocblas_fill_17rocblas_diagonal_.has_recursion, 0
	.set _ZN9rocsolver6v33100L8copy_matI19rocblas_complex_numIfEfLb0EPS3_TnNSt9enable_ifIX18rocblas_is_complexIT_EEiE4typeELi0EEEvNS0_17copymat_directionEiiT2_iilPT0_13rocblas_fill_17rocblas_diagonal_.has_indirect_call, 0
	.section	.AMDGPU.csdata,"",@progbits
; Kernel info:
; codeLenInByte = 548
; TotalNumSgprs: 28
; NumVgprs: 8
; ScratchSize: 0
; MemoryBound: 0
; FloatMode: 240
; IeeeMode: 1
; LDSByteSize: 0 bytes/workgroup (compile time only)
; SGPRBlocks: 3
; VGPRBlocks: 1
; NumSGPRsForWavesPerEU: 28
; NumVGPRsForWavesPerEU: 8
; Occupancy: 10
; WaveLimiterHint : 0
; COMPUTE_PGM_RSRC2:SCRATCH_EN: 0
; COMPUTE_PGM_RSRC2:USER_SGPR: 6
; COMPUTE_PGM_RSRC2:TRAP_HANDLER: 0
; COMPUTE_PGM_RSRC2:TGID_X_EN: 1
; COMPUTE_PGM_RSRC2:TGID_Y_EN: 1
; COMPUTE_PGM_RSRC2:TGID_Z_EN: 1
; COMPUTE_PGM_RSRC2:TIDIG_COMP_CNT: 1
	.section	.text._ZN9rocsolver6v33100L8set_zeroI19rocblas_complex_numIfEPS3_EEviiT0_iil13rocblas_fill_,"axG",@progbits,_ZN9rocsolver6v33100L8set_zeroI19rocblas_complex_numIfEPS3_EEviiT0_iil13rocblas_fill_,comdat
	.globl	_ZN9rocsolver6v33100L8set_zeroI19rocblas_complex_numIfEPS3_EEviiT0_iil13rocblas_fill_ ; -- Begin function _ZN9rocsolver6v33100L8set_zeroI19rocblas_complex_numIfEPS3_EEviiT0_iil13rocblas_fill_
	.p2align	8
	.type	_ZN9rocsolver6v33100L8set_zeroI19rocblas_complex_numIfEPS3_EEviiT0_iil13rocblas_fill_,@function
_ZN9rocsolver6v33100L8set_zeroI19rocblas_complex_numIfEPS3_EEviiT0_iil13rocblas_fill_: ; @_ZN9rocsolver6v33100L8set_zeroI19rocblas_complex_numIfEPS3_EEviiT0_iil13rocblas_fill_
; %bb.0:
	s_load_dword s2, s[4:5], 0x34
	s_load_dwordx2 s[0:1], s[4:5], 0x0
	s_waitcnt lgkmcnt(0)
	s_lshr_b32 s3, s2, 16
	s_and_b32 s2, s2, 0xffff
	s_mul_i32 s6, s6, s2
	s_mul_i32 s7, s7, s3
	v_add_u32_e32 v0, s6, v0
	v_add_u32_e32 v1, s7, v1
	v_cmp_gt_u32_e32 vcc, s0, v0
	v_cmp_gt_u32_e64 s[0:1], s1, v1
	s_and_b64 s[0:1], vcc, s[0:1]
	s_and_saveexec_b64 s[2:3], s[0:1]
	s_cbranch_execz .LBB60_12
; %bb.1:
	s_load_dword s6, s[4:5], 0x20
	s_waitcnt lgkmcnt(0)
	s_cmpk_lt_i32 s6, 0x7a
	s_cbranch_scc1 .LBB60_4
; %bb.2:
	s_cmpk_gt_i32 s6, 0x7a
	s_cbranch_scc0 .LBB60_5
; %bb.3:
	s_cmpk_eq_i32 s6, 0x7b
	s_cselect_b64 s[0:1], -1, 0
	s_cbranch_execz .LBB60_6
	s_branch .LBB60_7
.LBB60_4:
	s_mov_b64 s[0:1], 0
	s_cbranch_execnz .LBB60_8
	s_branch .LBB60_10
.LBB60_5:
	s_mov_b64 s[0:1], 0
.LBB60_6:
	v_cmp_gt_u32_e32 vcc, v1, v0
	s_andn2_b64 s[0:1], s[0:1], exec
	s_and_b64 s[2:3], vcc, exec
	s_or_b64 s[0:1], s[0:1], s[2:3]
.LBB60_7:
	s_branch .LBB60_10
.LBB60_8:
	s_cmpk_eq_i32 s6, 0x79
	s_cbranch_scc0 .LBB60_10
; %bb.9:
	v_cmp_gt_u32_e32 vcc, v0, v1
	s_andn2_b64 s[0:1], s[0:1], exec
	s_and_b64 s[2:3], vcc, exec
	s_or_b64 s[0:1], s[0:1], s[2:3]
.LBB60_10:
	s_and_b64 exec, exec, s[0:1]
	s_cbranch_execz .LBB60_12
; %bb.11:
	s_load_dwordx4 s[0:3], s[4:5], 0x8
	s_load_dwordx2 s[6:7], s[4:5], 0x18
	s_waitcnt lgkmcnt(0)
	s_ashr_i32 s5, s2, 31
	s_mov_b32 s4, s2
	s_mul_i32 s2, s7, s8
	s_mul_hi_u32 s7, s6, s8
	s_add_i32 s7, s7, s2
	s_mul_i32 s6, s6, s8
	v_mad_u64_u32 v[0:1], s[2:3], v1, s3, v[0:1]
	s_lshl_b64 s[6:7], s[6:7], 3
	s_add_u32 s6, s0, s6
	s_addc_u32 s7, s1, s7
	s_lshl_b64 s[0:1], s[4:5], 3
	v_mov_b32_e32 v1, 0
	s_add_u32 s0, s6, s0
	v_lshlrev_b64 v[2:3], 3, v[0:1]
	s_addc_u32 s1, s7, s1
	v_mov_b32_e32 v0, s1
	v_add_co_u32_e32 v2, vcc, s0, v2
	v_addc_co_u32_e32 v3, vcc, v0, v3, vcc
	v_mov_b32_e32 v0, v1
	global_store_dwordx2 v[2:3], v[0:1], off
.LBB60_12:
	s_endpgm
	.section	.rodata,"a",@progbits
	.p2align	6, 0x0
	.amdhsa_kernel _ZN9rocsolver6v33100L8set_zeroI19rocblas_complex_numIfEPS3_EEviiT0_iil13rocblas_fill_
		.amdhsa_group_segment_fixed_size 0
		.amdhsa_private_segment_fixed_size 0
		.amdhsa_kernarg_size 296
		.amdhsa_user_sgpr_count 6
		.amdhsa_user_sgpr_private_segment_buffer 1
		.amdhsa_user_sgpr_dispatch_ptr 0
		.amdhsa_user_sgpr_queue_ptr 0
		.amdhsa_user_sgpr_kernarg_segment_ptr 1
		.amdhsa_user_sgpr_dispatch_id 0
		.amdhsa_user_sgpr_flat_scratch_init 0
		.amdhsa_user_sgpr_private_segment_size 0
		.amdhsa_uses_dynamic_stack 0
		.amdhsa_system_sgpr_private_segment_wavefront_offset 0
		.amdhsa_system_sgpr_workgroup_id_x 1
		.amdhsa_system_sgpr_workgroup_id_y 1
		.amdhsa_system_sgpr_workgroup_id_z 1
		.amdhsa_system_sgpr_workgroup_info 0
		.amdhsa_system_vgpr_workitem_id 1
		.amdhsa_next_free_vgpr 4
		.amdhsa_next_free_sgpr 9
		.amdhsa_reserve_vcc 1
		.amdhsa_reserve_flat_scratch 0
		.amdhsa_float_round_mode_32 0
		.amdhsa_float_round_mode_16_64 0
		.amdhsa_float_denorm_mode_32 3
		.amdhsa_float_denorm_mode_16_64 3
		.amdhsa_dx10_clamp 1
		.amdhsa_ieee_mode 1
		.amdhsa_fp16_overflow 0
		.amdhsa_exception_fp_ieee_invalid_op 0
		.amdhsa_exception_fp_denorm_src 0
		.amdhsa_exception_fp_ieee_div_zero 0
		.amdhsa_exception_fp_ieee_overflow 0
		.amdhsa_exception_fp_ieee_underflow 0
		.amdhsa_exception_fp_ieee_inexact 0
		.amdhsa_exception_int_div_zero 0
	.end_amdhsa_kernel
	.section	.text._ZN9rocsolver6v33100L8set_zeroI19rocblas_complex_numIfEPS3_EEviiT0_iil13rocblas_fill_,"axG",@progbits,_ZN9rocsolver6v33100L8set_zeroI19rocblas_complex_numIfEPS3_EEviiT0_iil13rocblas_fill_,comdat
.Lfunc_end60:
	.size	_ZN9rocsolver6v33100L8set_zeroI19rocblas_complex_numIfEPS3_EEviiT0_iil13rocblas_fill_, .Lfunc_end60-_ZN9rocsolver6v33100L8set_zeroI19rocblas_complex_numIfEPS3_EEviiT0_iil13rocblas_fill_
                                        ; -- End function
	.set _ZN9rocsolver6v33100L8set_zeroI19rocblas_complex_numIfEPS3_EEviiT0_iil13rocblas_fill_.num_vgpr, 4
	.set _ZN9rocsolver6v33100L8set_zeroI19rocblas_complex_numIfEPS3_EEviiT0_iil13rocblas_fill_.num_agpr, 0
	.set _ZN9rocsolver6v33100L8set_zeroI19rocblas_complex_numIfEPS3_EEviiT0_iil13rocblas_fill_.numbered_sgpr, 9
	.set _ZN9rocsolver6v33100L8set_zeroI19rocblas_complex_numIfEPS3_EEviiT0_iil13rocblas_fill_.num_named_barrier, 0
	.set _ZN9rocsolver6v33100L8set_zeroI19rocblas_complex_numIfEPS3_EEviiT0_iil13rocblas_fill_.private_seg_size, 0
	.set _ZN9rocsolver6v33100L8set_zeroI19rocblas_complex_numIfEPS3_EEviiT0_iil13rocblas_fill_.uses_vcc, 1
	.set _ZN9rocsolver6v33100L8set_zeroI19rocblas_complex_numIfEPS3_EEviiT0_iil13rocblas_fill_.uses_flat_scratch, 0
	.set _ZN9rocsolver6v33100L8set_zeroI19rocblas_complex_numIfEPS3_EEviiT0_iil13rocblas_fill_.has_dyn_sized_stack, 0
	.set _ZN9rocsolver6v33100L8set_zeroI19rocblas_complex_numIfEPS3_EEviiT0_iil13rocblas_fill_.has_recursion, 0
	.set _ZN9rocsolver6v33100L8set_zeroI19rocblas_complex_numIfEPS3_EEviiT0_iil13rocblas_fill_.has_indirect_call, 0
	.section	.AMDGPU.csdata,"",@progbits
; Kernel info:
; codeLenInByte = 300
; TotalNumSgprs: 13
; NumVgprs: 4
; ScratchSize: 0
; MemoryBound: 0
; FloatMode: 240
; IeeeMode: 1
; LDSByteSize: 0 bytes/workgroup (compile time only)
; SGPRBlocks: 1
; VGPRBlocks: 0
; NumSGPRsForWavesPerEU: 13
; NumVGPRsForWavesPerEU: 4
; Occupancy: 10
; WaveLimiterHint : 0
; COMPUTE_PGM_RSRC2:SCRATCH_EN: 0
; COMPUTE_PGM_RSRC2:USER_SGPR: 6
; COMPUTE_PGM_RSRC2:TRAP_HANDLER: 0
; COMPUTE_PGM_RSRC2:TGID_X_EN: 1
; COMPUTE_PGM_RSRC2:TGID_Y_EN: 1
; COMPUTE_PGM_RSRC2:TGID_Z_EN: 1
; COMPUTE_PGM_RSRC2:TIDIG_COMP_CNT: 1
	.section	.text._ZN9rocsolver6v33100L8copy_matI19rocblas_complex_numIfEfLb1EPS3_TnNSt9enable_ifIX18rocblas_is_complexIT_EEiE4typeELi0EEEvNS0_17copymat_directionEiiT2_iilPT0_13rocblas_fill_17rocblas_diagonal_,"axG",@progbits,_ZN9rocsolver6v33100L8copy_matI19rocblas_complex_numIfEfLb1EPS3_TnNSt9enable_ifIX18rocblas_is_complexIT_EEiE4typeELi0EEEvNS0_17copymat_directionEiiT2_iilPT0_13rocblas_fill_17rocblas_diagonal_,comdat
	.globl	_ZN9rocsolver6v33100L8copy_matI19rocblas_complex_numIfEfLb1EPS3_TnNSt9enable_ifIX18rocblas_is_complexIT_EEiE4typeELi0EEEvNS0_17copymat_directionEiiT2_iilPT0_13rocblas_fill_17rocblas_diagonal_ ; -- Begin function _ZN9rocsolver6v33100L8copy_matI19rocblas_complex_numIfEfLb1EPS3_TnNSt9enable_ifIX18rocblas_is_complexIT_EEiE4typeELi0EEEvNS0_17copymat_directionEiiT2_iilPT0_13rocblas_fill_17rocblas_diagonal_
	.p2align	8
	.type	_ZN9rocsolver6v33100L8copy_matI19rocblas_complex_numIfEfLb1EPS3_TnNSt9enable_ifIX18rocblas_is_complexIT_EEiE4typeELi0EEEvNS0_17copymat_directionEiiT2_iilPT0_13rocblas_fill_17rocblas_diagonal_,@function
_ZN9rocsolver6v33100L8copy_matI19rocblas_complex_numIfEfLb1EPS3_TnNSt9enable_ifIX18rocblas_is_complexIT_EEiE4typeELi0EEEvNS0_17copymat_directionEiiT2_iilPT0_13rocblas_fill_17rocblas_diagonal_: ; @_ZN9rocsolver6v33100L8copy_matI19rocblas_complex_numIfEfLb1EPS3_TnNSt9enable_ifIX18rocblas_is_complexIT_EEiE4typeELi0EEEvNS0_17copymat_directionEiiT2_iilPT0_13rocblas_fill_17rocblas_diagonal_
; %bb.0:
	s_load_dwordx4 s[20:23], s[4:5], 0x0
	s_load_dword s0, s[4:5], 0x44
	s_waitcnt lgkmcnt(0)
	s_lshr_b32 s1, s0, 16
	s_and_b32 s0, s0, 0xffff
	s_mul_i32 s7, s7, s1
	s_mul_i32 s6, s6, s0
	v_add_u32_e32 v1, s7, v1
	v_add_u32_e32 v0, s6, v0
	v_cmp_gt_u32_e32 vcc, s21, v0
	v_cmp_gt_u32_e64 s[0:1], s22, v1
	s_and_b64 s[0:1], s[0:1], vcc
	s_and_saveexec_b64 s[2:3], s[0:1]
	s_cbranch_execz .LBB61_16
; %bb.1:
	s_load_dwordx2 s[2:3], s[4:5], 0x30
	s_mov_b32 s9, s21
	s_waitcnt lgkmcnt(0)
	s_cmpk_lt_i32 s2, 0x7a
	s_cbranch_scc1 .LBB61_4
; %bb.2:
	s_cmpk_gt_i32 s2, 0x7a
	s_cbranch_scc0 .LBB61_5
; %bb.3:
	s_cmpk_lg_i32 s2, 0x7b
	s_mov_b64 s[6:7], -1
	s_cselect_b64 s[10:11], -1, 0
	s_cbranch_execz .LBB61_6
	s_branch .LBB61_7
.LBB61_4:
	s_mov_b64 s[10:11], 0
	s_mov_b64 s[6:7], 0
	s_cbranch_execnz .LBB61_8
	s_branch .LBB61_10
.LBB61_5:
	s_mov_b64 s[6:7], 0
	s_mov_b64 s[10:11], 0
.LBB61_6:
	v_cmp_gt_u32_e32 vcc, v0, v1
	v_cmp_le_u32_e64 s[0:1], v0, v1
	s_andn2_b64 s[6:7], s[6:7], exec
	s_and_b64 s[12:13], vcc, exec
	s_andn2_b64 s[10:11], s[10:11], exec
	s_and_b64 s[0:1], s[0:1], exec
	s_or_b64 s[6:7], s[6:7], s[12:13]
	s_or_b64 s[10:11], s[10:11], s[0:1]
.LBB61_7:
	s_branch .LBB61_10
.LBB61_8:
	s_cmpk_eq_i32 s2, 0x79
	s_mov_b64 s[10:11], -1
	s_cbranch_scc0 .LBB61_10
; %bb.9:
	v_cmp_gt_u32_e32 vcc, v1, v0
	v_cmp_le_u32_e64 s[0:1], v1, v0
	s_andn2_b64 s[6:7], s[6:7], exec
	s_and_b64 s[10:11], vcc, exec
	s_or_b64 s[6:7], s[6:7], s[10:11]
	s_orn2_b64 s[10:11], s[0:1], exec
.LBB61_10:
	s_and_saveexec_b64 s[0:1], s[10:11]
; %bb.11:
	s_cmpk_eq_i32 s3, 0x83
	s_cselect_b64 s[2:3], -1, 0
	v_cmp_eq_u32_e32 vcc, v0, v1
	s_and_b64 s[2:3], s[2:3], vcc
	s_andn2_b64 s[6:7], s[6:7], exec
	s_and_b64 s[2:3], s[2:3], exec
	s_or_b64 s[6:7], s[6:7], s[2:3]
; %bb.12:
	s_or_b64 exec, exec, s[0:1]
	s_and_b64 exec, exec, s[6:7]
	s_cbranch_execz .LBB61_16
; %bb.13:
	s_load_dwordx8 s[12:19], s[4:5], 0x10
	s_ashr_i32 s4, s21, 31
	s_ashr_i32 s5, s22, 31
	s_mul_i32 s4, s4, s8
	s_waitcnt lgkmcnt(0)
	s_mul_i32 s2, s17, s8
	s_mul_hi_u32 s3, s16, s8
	s_add_i32 s3, s3, s2
	s_mul_i32 s2, s16, s8
	s_ashr_i32 s1, s14, 31
	s_lshl_b64 s[2:3], s[2:3], 3
	s_mov_b32 s0, s14
	s_add_u32 s2, s12, s2
	s_addc_u32 s3, s13, s3
	s_lshl_b64 s[0:1], s[0:1], 3
	s_add_u32 s2, s2, s0
	s_mul_hi_u32 s0, s21, s8
	s_addc_u32 s3, s3, s1
	s_add_i32 s0, s0, s4
	s_mul_i32 s4, s21, s8
	s_mul_i32 s1, s4, s5
	s_mul_hi_u32 s5, s4, s22
	s_add_i32 s1, s5, s1
	s_mul_i32 s0, s0, s22
	s_add_i32 s1, s1, s0
	s_mul_i32 s0, s4, s22
	s_lshl_b64 s[0:1], s[0:1], 2
	s_add_u32 s4, s18, s0
	s_addc_u32 s5, s19, s1
	s_cmp_lg_u32 s20, 0
	s_cbranch_scc0 .LBB61_17
; %bb.14:
	v_mad_u64_u32 v[2:3], s[0:1], v1, s9, v[0:1]
	v_mov_b32_e32 v3, 0
	v_mov_b32_e32 v6, s5
	v_lshlrev_b64 v[4:5], 2, v[2:3]
	v_mov_b32_e32 v7, s3
	v_add_co_u32_e32 v4, vcc, s4, v4
	v_addc_co_u32_e32 v5, vcc, v6, v5, vcc
	global_load_dword v6, v[4:5], off
	v_mad_u64_u32 v[4:5], s[0:1], v1, s15, v[0:1]
	v_mov_b32_e32 v5, v3
	v_lshlrev_b64 v[2:3], 3, v[4:5]
	v_add_co_u32_e32 v2, vcc, s2, v2
	v_addc_co_u32_e32 v3, vcc, v7, v3, vcc
	s_waitcnt vmcnt(0)
	global_store_dword v[2:3], v6, off
	s_cbranch_execnz .LBB61_16
.LBB61_15:
	v_mad_u64_u32 v[2:3], s[0:1], v1, s15, v[0:1]
	v_mov_b32_e32 v3, 0
	v_mov_b32_e32 v6, s3
	v_lshlrev_b64 v[4:5], 3, v[2:3]
	v_mad_u64_u32 v[0:1], s[0:1], v1, s9, v[0:1]
	v_add_co_u32_e32 v4, vcc, s2, v4
	v_addc_co_u32_e32 v5, vcc, v6, v5, vcc
	global_load_dword v2, v[4:5], off
	v_mov_b32_e32 v1, v3
	v_lshlrev_b64 v[0:1], 2, v[0:1]
	v_mov_b32_e32 v3, s5
	v_add_co_u32_e32 v0, vcc, s4, v0
	v_addc_co_u32_e32 v1, vcc, v3, v1, vcc
	s_waitcnt vmcnt(0)
	global_store_dword v[0:1], v2, off
.LBB61_16:
	s_endpgm
.LBB61_17:
	s_branch .LBB61_15
	.section	.rodata,"a",@progbits
	.p2align	6, 0x0
	.amdhsa_kernel _ZN9rocsolver6v33100L8copy_matI19rocblas_complex_numIfEfLb1EPS3_TnNSt9enable_ifIX18rocblas_is_complexIT_EEiE4typeELi0EEEvNS0_17copymat_directionEiiT2_iilPT0_13rocblas_fill_17rocblas_diagonal_
		.amdhsa_group_segment_fixed_size 0
		.amdhsa_private_segment_fixed_size 0
		.amdhsa_kernarg_size 312
		.amdhsa_user_sgpr_count 6
		.amdhsa_user_sgpr_private_segment_buffer 1
		.amdhsa_user_sgpr_dispatch_ptr 0
		.amdhsa_user_sgpr_queue_ptr 0
		.amdhsa_user_sgpr_kernarg_segment_ptr 1
		.amdhsa_user_sgpr_dispatch_id 0
		.amdhsa_user_sgpr_flat_scratch_init 0
		.amdhsa_user_sgpr_private_segment_size 0
		.amdhsa_uses_dynamic_stack 0
		.amdhsa_system_sgpr_private_segment_wavefront_offset 0
		.amdhsa_system_sgpr_workgroup_id_x 1
		.amdhsa_system_sgpr_workgroup_id_y 1
		.amdhsa_system_sgpr_workgroup_id_z 1
		.amdhsa_system_sgpr_workgroup_info 0
		.amdhsa_system_vgpr_workitem_id 1
		.amdhsa_next_free_vgpr 8
		.amdhsa_next_free_sgpr 24
		.amdhsa_reserve_vcc 1
		.amdhsa_reserve_flat_scratch 0
		.amdhsa_float_round_mode_32 0
		.amdhsa_float_round_mode_16_64 0
		.amdhsa_float_denorm_mode_32 3
		.amdhsa_float_denorm_mode_16_64 3
		.amdhsa_dx10_clamp 1
		.amdhsa_ieee_mode 1
		.amdhsa_fp16_overflow 0
		.amdhsa_exception_fp_ieee_invalid_op 0
		.amdhsa_exception_fp_denorm_src 0
		.amdhsa_exception_fp_ieee_div_zero 0
		.amdhsa_exception_fp_ieee_overflow 0
		.amdhsa_exception_fp_ieee_underflow 0
		.amdhsa_exception_fp_ieee_inexact 0
		.amdhsa_exception_int_div_zero 0
	.end_amdhsa_kernel
	.section	.text._ZN9rocsolver6v33100L8copy_matI19rocblas_complex_numIfEfLb1EPS3_TnNSt9enable_ifIX18rocblas_is_complexIT_EEiE4typeELi0EEEvNS0_17copymat_directionEiiT2_iilPT0_13rocblas_fill_17rocblas_diagonal_,"axG",@progbits,_ZN9rocsolver6v33100L8copy_matI19rocblas_complex_numIfEfLb1EPS3_TnNSt9enable_ifIX18rocblas_is_complexIT_EEiE4typeELi0EEEvNS0_17copymat_directionEiiT2_iilPT0_13rocblas_fill_17rocblas_diagonal_,comdat
.Lfunc_end61:
	.size	_ZN9rocsolver6v33100L8copy_matI19rocblas_complex_numIfEfLb1EPS3_TnNSt9enable_ifIX18rocblas_is_complexIT_EEiE4typeELi0EEEvNS0_17copymat_directionEiiT2_iilPT0_13rocblas_fill_17rocblas_diagonal_, .Lfunc_end61-_ZN9rocsolver6v33100L8copy_matI19rocblas_complex_numIfEfLb1EPS3_TnNSt9enable_ifIX18rocblas_is_complexIT_EEiE4typeELi0EEEvNS0_17copymat_directionEiiT2_iilPT0_13rocblas_fill_17rocblas_diagonal_
                                        ; -- End function
	.set _ZN9rocsolver6v33100L8copy_matI19rocblas_complex_numIfEfLb1EPS3_TnNSt9enable_ifIX18rocblas_is_complexIT_EEiE4typeELi0EEEvNS0_17copymat_directionEiiT2_iilPT0_13rocblas_fill_17rocblas_diagonal_.num_vgpr, 8
	.set _ZN9rocsolver6v33100L8copy_matI19rocblas_complex_numIfEfLb1EPS3_TnNSt9enable_ifIX18rocblas_is_complexIT_EEiE4typeELi0EEEvNS0_17copymat_directionEiiT2_iilPT0_13rocblas_fill_17rocblas_diagonal_.num_agpr, 0
	.set _ZN9rocsolver6v33100L8copy_matI19rocblas_complex_numIfEfLb1EPS3_TnNSt9enable_ifIX18rocblas_is_complexIT_EEiE4typeELi0EEEvNS0_17copymat_directionEiiT2_iilPT0_13rocblas_fill_17rocblas_diagonal_.numbered_sgpr, 24
	.set _ZN9rocsolver6v33100L8copy_matI19rocblas_complex_numIfEfLb1EPS3_TnNSt9enable_ifIX18rocblas_is_complexIT_EEiE4typeELi0EEEvNS0_17copymat_directionEiiT2_iilPT0_13rocblas_fill_17rocblas_diagonal_.num_named_barrier, 0
	.set _ZN9rocsolver6v33100L8copy_matI19rocblas_complex_numIfEfLb1EPS3_TnNSt9enable_ifIX18rocblas_is_complexIT_EEiE4typeELi0EEEvNS0_17copymat_directionEiiT2_iilPT0_13rocblas_fill_17rocblas_diagonal_.private_seg_size, 0
	.set _ZN9rocsolver6v33100L8copy_matI19rocblas_complex_numIfEfLb1EPS3_TnNSt9enable_ifIX18rocblas_is_complexIT_EEiE4typeELi0EEEvNS0_17copymat_directionEiiT2_iilPT0_13rocblas_fill_17rocblas_diagonal_.uses_vcc, 1
	.set _ZN9rocsolver6v33100L8copy_matI19rocblas_complex_numIfEfLb1EPS3_TnNSt9enable_ifIX18rocblas_is_complexIT_EEiE4typeELi0EEEvNS0_17copymat_directionEiiT2_iilPT0_13rocblas_fill_17rocblas_diagonal_.uses_flat_scratch, 0
	.set _ZN9rocsolver6v33100L8copy_matI19rocblas_complex_numIfEfLb1EPS3_TnNSt9enable_ifIX18rocblas_is_complexIT_EEiE4typeELi0EEEvNS0_17copymat_directionEiiT2_iilPT0_13rocblas_fill_17rocblas_diagonal_.has_dyn_sized_stack, 0
	.set _ZN9rocsolver6v33100L8copy_matI19rocblas_complex_numIfEfLb1EPS3_TnNSt9enable_ifIX18rocblas_is_complexIT_EEiE4typeELi0EEEvNS0_17copymat_directionEiiT2_iilPT0_13rocblas_fill_17rocblas_diagonal_.has_recursion, 0
	.set _ZN9rocsolver6v33100L8copy_matI19rocblas_complex_numIfEfLb1EPS3_TnNSt9enable_ifIX18rocblas_is_complexIT_EEiE4typeELi0EEEvNS0_17copymat_directionEiiT2_iilPT0_13rocblas_fill_17rocblas_diagonal_.has_indirect_call, 0
	.section	.AMDGPU.csdata,"",@progbits
; Kernel info:
; codeLenInByte = 580
; TotalNumSgprs: 28
; NumVgprs: 8
; ScratchSize: 0
; MemoryBound: 0
; FloatMode: 240
; IeeeMode: 1
; LDSByteSize: 0 bytes/workgroup (compile time only)
; SGPRBlocks: 3
; VGPRBlocks: 1
; NumSGPRsForWavesPerEU: 28
; NumVGPRsForWavesPerEU: 8
; Occupancy: 10
; WaveLimiterHint : 0
; COMPUTE_PGM_RSRC2:SCRATCH_EN: 0
; COMPUTE_PGM_RSRC2:USER_SGPR: 6
; COMPUTE_PGM_RSRC2:TRAP_HANDLER: 0
; COMPUTE_PGM_RSRC2:TGID_X_EN: 1
; COMPUTE_PGM_RSRC2:TGID_Y_EN: 1
; COMPUTE_PGM_RSRC2:TGID_Z_EN: 1
; COMPUTE_PGM_RSRC2:TIDIG_COMP_CNT: 1
	.section	.text._ZN9rocsolver6v33100L11stedc_copyCI19rocblas_complex_numIfEPS3_S4_EEviT0_iilT1_iil,"axG",@progbits,_ZN9rocsolver6v33100L11stedc_copyCI19rocblas_complex_numIfEPS3_S4_EEviT0_iilT1_iil,comdat
	.globl	_ZN9rocsolver6v33100L11stedc_copyCI19rocblas_complex_numIfEPS3_S4_EEviT0_iilT1_iil ; -- Begin function _ZN9rocsolver6v33100L11stedc_copyCI19rocblas_complex_numIfEPS3_S4_EEviT0_iilT1_iil
	.p2align	8
	.type	_ZN9rocsolver6v33100L11stedc_copyCI19rocblas_complex_numIfEPS3_S4_EEviT0_iilT1_iil,@function
_ZN9rocsolver6v33100L11stedc_copyCI19rocblas_complex_numIfEPS3_S4_EEviT0_iilT1_iil: ; @_ZN9rocsolver6v33100L11stedc_copyCI19rocblas_complex_numIfEPS3_S4_EEviT0_iilT1_iil
; %bb.0:
	s_load_dword s0, s[4:5], 0x44
	s_load_dword s37, s[4:5], 0x0
	s_waitcnt lgkmcnt(0)
	s_and_b32 s33, s0, 0xffff
	s_lshl_b32 s36, s33, 4
	v_cvt_f32_u32_e32 v1, s36
	s_sub_i32 s2, 0, s36
	s_add_i32 s0, s37, -1
	s_ashr_i32 s1, s0, 31
	v_rcp_iflag_f32_e32 v1, v1
	s_abs_i32 s0, s0
	v_mul_f32_e32 v1, 0x4f7ffffe, v1
	v_cvt_u32_f32_e32 v1, v1
	v_readfirstlane_b32 s3, v1
	s_mul_i32 s2, s2, s3
	s_mul_hi_u32 s2, s3, s2
	s_add_i32 s3, s3, s2
	s_mul_hi_u32 s2, s0, s3
	s_mul_i32 s3, s2, s36
	s_sub_i32 s0, s0, s3
	s_add_i32 s8, s2, 1
	s_sub_i32 s3, s0, s36
	s_cmp_ge_u32 s0, s36
	s_cselect_b32 s2, s8, s2
	s_cselect_b32 s0, s3, s0
	s_add_i32 s3, s2, 1
	s_cmp_ge_u32 s0, s36
	s_cselect_b32 s0, s3, s2
	s_xor_b32 s0, s0, s1
	s_sub_i32 s16, s0, s1
	s_cmp_lt_i32 s16, 0
	s_cbranch_scc1 .LBB62_67
; %bb.1:
	s_load_dwordx8 s[8:15], s[4:5], 0x8
	s_load_dwordx4 s[0:3], s[4:5], 0x28
	s_ashr_i32 s17, s7, 31
	s_mul_i32 s44, s33, 3
	s_mul_i32 s46, s33, 5
	s_waitcnt lgkmcnt(0)
	s_ashr_i32 s5, s10, 31
	s_mov_b32 s4, s10
	s_mul_hi_u32 s10, s12, s7
	s_mul_i32 s18, s12, s17
	s_add_i32 s10, s10, s18
	s_mul_i32 s13, s13, s7
	s_add_i32 s13, s10, s13
	s_mul_i32 s12, s12, s7
	s_lshl_b64 s[12:13], s[12:13], 3
	s_add_u32 s8, s8, s12
	s_addc_u32 s9, s9, s13
	s_lshl_b64 s[4:5], s[4:5], 3
	s_add_u32 s8, s8, s4
	s_addc_u32 s9, s9, s5
	s_ashr_i32 s5, s0, 31
	s_mov_b32 s4, s0
	s_mul_hi_u32 s0, s2, s7
	s_mul_i32 s10, s2, s17
	s_add_i32 s0, s0, s10
	s_mul_i32 s3, s3, s7
	s_add_i32 s3, s0, s3
	s_mul_i32 s2, s2, s7
	s_lshl_b64 s[2:3], s[2:3], 3
	s_add_u32 s0, s14, s2
	s_addc_u32 s7, s15, s3
	s_lshl_b64 s[2:3], s[4:5], 3
	s_add_u32 s4, s0, s2
	s_mul_i32 s2, s11, s6
	s_addc_u32 s5, s7, s3
	s_ashr_i32 s3, s2, 31
	s_lshl_b64 s[2:3], s[2:3], 3
	s_add_u32 s38, s8, s2
	s_mul_i32 s0, s1, s6
	s_addc_u32 s39, s9, s3
	s_ashr_i32 s1, s0, 31
	s_lshl_b64 s[0:1], s[0:1], 3
	s_add_u32 s40, s4, s0
	s_addc_u32 s41, s5, s1
	s_add_i32 s42, s16, 1
	s_lshl_b32 s43, s33, 1
	s_lshl_b32 s45, s33, 2
	s_mul_i32 s47, s33, 6
	s_mul_i32 s48, s33, 7
	s_lshl_b32 s49, s33, 3
	s_mul_i32 s50, s33, 9
	s_mul_i32 s51, s33, 10
	;; [unrolled: 1-line block ×7, first 2 shown]
                                        ; implicit-def: $vgpr2_vgpr3
                                        ; implicit-def: $vgpr4_vgpr5
                                        ; implicit-def: $vgpr6_vgpr7
                                        ; implicit-def: $vgpr8_vgpr9
                                        ; implicit-def: $vgpr10_vgpr11
                                        ; implicit-def: $vgpr12_vgpr13
                                        ; implicit-def: $vgpr14_vgpr15
                                        ; implicit-def: $vgpr16_vgpr17
                                        ; implicit-def: $vgpr18_vgpr19
                                        ; implicit-def: $vgpr20_vgpr21
                                        ; implicit-def: $vgpr22_vgpr23
                                        ; implicit-def: $vgpr24_vgpr25
                                        ; implicit-def: $vgpr26_vgpr27
                                        ; implicit-def: $vgpr28_vgpr29
                                        ; implicit-def: $vgpr30_vgpr31
                                        ; implicit-def: $vgpr32_vgpr33
	s_branch .LBB62_3
.LBB62_2:                               ;   in Loop: Header=BB62_3 Depth=1
	s_or_b64 exec, exec, s[0:1]
	s_add_i32 s42, s42, -1
	s_cmp_eq_u32 s42, 0
	v_add_u32_e32 v0, s36, v0
	s_cbranch_scc1 .LBB62_67
.LBB62_3:                               ; =>This Inner Loop Header: Depth=1
	v_cmp_gt_i32_e32 vcc, s37, v0
	v_ashrrev_i32_e32 v1, 31, v0
	s_and_saveexec_b64 s[2:3], vcc
	s_cbranch_execz .LBB62_5
; %bb.4:                                ;   in Loop: Header=BB62_3 Depth=1
	s_waitcnt vmcnt(0)
	v_lshlrev_b64 v[32:33], 3, v[0:1]
	v_mov_b32_e32 v34, s39
	v_add_co_u32_e64 v32, s[0:1], s38, v32
	v_addc_co_u32_e64 v33, s[0:1], v34, v33, s[0:1]
	global_load_dwordx2 v[32:33], v[32:33], off
.LBB62_5:                               ;   in Loop: Header=BB62_3 Depth=1
	s_or_b64 exec, exec, s[2:3]
	v_add_u32_e32 v34, s33, v0
	v_cmp_gt_i32_e64 s[0:1], s37, v34
	v_ashrrev_i32_e32 v35, 31, v34
	s_and_saveexec_b64 s[4:5], s[0:1]
	s_cbranch_execz .LBB62_7
; %bb.6:                                ;   in Loop: Header=BB62_3 Depth=1
	s_waitcnt vmcnt(0)
	v_lshlrev_b64 v[30:31], 3, v[34:35]
	v_mov_b32_e32 v36, s39
	v_add_co_u32_e64 v30, s[2:3], s38, v30
	v_addc_co_u32_e64 v31, s[2:3], v36, v31, s[2:3]
	global_load_dwordx2 v[30:31], v[30:31], off
.LBB62_7:                               ;   in Loop: Header=BB62_3 Depth=1
	s_or_b64 exec, exec, s[4:5]
	v_add_u32_e32 v36, s43, v0
	v_add_u32_e32 v39, s33, v34
	v_cmp_gt_i32_e64 s[2:3], s37, v39
	v_ashrrev_i32_e32 v37, 31, v36
	s_and_saveexec_b64 s[6:7], s[2:3]
	s_cbranch_execz .LBB62_9
; %bb.8:                                ;   in Loop: Header=BB62_3 Depth=1
	s_waitcnt vmcnt(0)
	v_lshlrev_b64 v[28:29], 3, v[36:37]
	v_mov_b32_e32 v38, s39
	v_add_co_u32_e64 v28, s[4:5], s38, v28
	v_addc_co_u32_e64 v29, s[4:5], v38, v29, s[4:5]
	global_load_dwordx2 v[28:29], v[28:29], off
.LBB62_9:                               ;   in Loop: Header=BB62_3 Depth=1
	s_or_b64 exec, exec, s[6:7]
	v_add_u32_e32 v38, s44, v0
	v_add_u32_e32 v41, s33, v39
	v_cmp_gt_i32_e64 s[4:5], s37, v41
	v_ashrrev_i32_e32 v39, 31, v38
	s_and_saveexec_b64 s[8:9], s[4:5]
	s_cbranch_execz .LBB62_11
; %bb.10:                               ;   in Loop: Header=BB62_3 Depth=1
	s_waitcnt vmcnt(0)
	v_lshlrev_b64 v[26:27], 3, v[38:39]
	v_mov_b32_e32 v40, s39
	v_add_co_u32_e64 v26, s[6:7], s38, v26
	v_addc_co_u32_e64 v27, s[6:7], v40, v27, s[6:7]
	global_load_dwordx2 v[26:27], v[26:27], off
.LBB62_11:                              ;   in Loop: Header=BB62_3 Depth=1
	s_or_b64 exec, exec, s[8:9]
	v_add_u32_e32 v40, s45, v0
	v_add_u32_e32 v43, s33, v41
	v_cmp_gt_i32_e64 s[6:7], s37, v43
	v_ashrrev_i32_e32 v41, 31, v40
	s_and_saveexec_b64 s[10:11], s[6:7]
	s_cbranch_execz .LBB62_13
; %bb.12:                               ;   in Loop: Header=BB62_3 Depth=1
	s_waitcnt vmcnt(0)
	v_lshlrev_b64 v[24:25], 3, v[40:41]
	v_mov_b32_e32 v42, s39
	v_add_co_u32_e64 v24, s[8:9], s38, v24
	v_addc_co_u32_e64 v25, s[8:9], v42, v25, s[8:9]
	global_load_dwordx2 v[24:25], v[24:25], off
.LBB62_13:                              ;   in Loop: Header=BB62_3 Depth=1
	;; [unrolled: 15-line block ×12, first 2 shown]
	s_or_b64 exec, exec, s[30:31]
	v_add_u32_e32 v62, s56, v0
	v_add_u32_e32 v63, s33, v63
	v_cmp_gt_i32_e64 s[28:29], s37, v63
	v_ashrrev_i32_e32 v63, 31, v62
	s_and_saveexec_b64 s[34:35], s[28:29]
	s_cbranch_execnz .LBB62_50
; %bb.34:                               ;   in Loop: Header=BB62_3 Depth=1
	s_or_b64 exec, exec, s[34:35]
	s_and_saveexec_b64 s[30:31], vcc
	s_cbranch_execnz .LBB62_51
.LBB62_35:                              ;   in Loop: Header=BB62_3 Depth=1
	s_or_b64 exec, exec, s[30:31]
	s_and_saveexec_b64 s[30:31], s[0:1]
	s_cbranch_execnz .LBB62_52
.LBB62_36:                              ;   in Loop: Header=BB62_3 Depth=1
	s_or_b64 exec, exec, s[30:31]
	s_and_saveexec_b64 s[0:1], s[2:3]
	s_cbranch_execnz .LBB62_53
.LBB62_37:                              ;   in Loop: Header=BB62_3 Depth=1
	s_or_b64 exec, exec, s[0:1]
	s_and_saveexec_b64 s[0:1], s[4:5]
	s_cbranch_execnz .LBB62_54
.LBB62_38:                              ;   in Loop: Header=BB62_3 Depth=1
	s_or_b64 exec, exec, s[0:1]
	s_and_saveexec_b64 s[0:1], s[6:7]
	s_cbranch_execnz .LBB62_55
.LBB62_39:                              ;   in Loop: Header=BB62_3 Depth=1
	s_or_b64 exec, exec, s[0:1]
	s_and_saveexec_b64 s[0:1], s[8:9]
	s_cbranch_execnz .LBB62_56
.LBB62_40:                              ;   in Loop: Header=BB62_3 Depth=1
	s_or_b64 exec, exec, s[0:1]
	s_and_saveexec_b64 s[0:1], s[10:11]
	s_cbranch_execnz .LBB62_57
.LBB62_41:                              ;   in Loop: Header=BB62_3 Depth=1
	s_or_b64 exec, exec, s[0:1]
	s_and_saveexec_b64 s[0:1], s[12:13]
	s_cbranch_execnz .LBB62_58
.LBB62_42:                              ;   in Loop: Header=BB62_3 Depth=1
	s_or_b64 exec, exec, s[0:1]
	s_and_saveexec_b64 s[0:1], s[14:15]
	s_cbranch_execnz .LBB62_59
.LBB62_43:                              ;   in Loop: Header=BB62_3 Depth=1
	s_or_b64 exec, exec, s[0:1]
	s_and_saveexec_b64 s[0:1], s[16:17]
	s_cbranch_execnz .LBB62_60
.LBB62_44:                              ;   in Loop: Header=BB62_3 Depth=1
	s_or_b64 exec, exec, s[0:1]
	s_and_saveexec_b64 s[0:1], s[18:19]
	s_cbranch_execnz .LBB62_61
.LBB62_45:                              ;   in Loop: Header=BB62_3 Depth=1
	s_or_b64 exec, exec, s[0:1]
	s_and_saveexec_b64 s[0:1], s[20:21]
	s_cbranch_execnz .LBB62_62
.LBB62_46:                              ;   in Loop: Header=BB62_3 Depth=1
	s_or_b64 exec, exec, s[0:1]
	s_and_saveexec_b64 s[0:1], s[22:23]
	s_cbranch_execnz .LBB62_63
.LBB62_47:                              ;   in Loop: Header=BB62_3 Depth=1
	s_or_b64 exec, exec, s[0:1]
	s_and_saveexec_b64 s[0:1], s[24:25]
	s_cbranch_execnz .LBB62_64
.LBB62_48:                              ;   in Loop: Header=BB62_3 Depth=1
	s_or_b64 exec, exec, s[0:1]
	s_and_saveexec_b64 s[0:1], s[26:27]
	s_cbranch_execnz .LBB62_65
.LBB62_49:                              ;   in Loop: Header=BB62_3 Depth=1
	s_or_b64 exec, exec, s[0:1]
	s_and_saveexec_b64 s[0:1], s[28:29]
	s_cbranch_execz .LBB62_2
	s_branch .LBB62_66
.LBB62_50:                              ;   in Loop: Header=BB62_3 Depth=1
	s_waitcnt vmcnt(0)
	v_lshlrev_b64 v[2:3], 3, v[62:63]
	v_mov_b32_e32 v64, s39
	v_add_co_u32_e64 v2, s[30:31], s38, v2
	v_addc_co_u32_e64 v3, s[30:31], v64, v3, s[30:31]
	global_load_dwordx2 v[2:3], v[2:3], off
	s_or_b64 exec, exec, s[34:35]
	s_and_saveexec_b64 s[30:31], vcc
	s_cbranch_execz .LBB62_35
.LBB62_51:                              ;   in Loop: Header=BB62_3 Depth=1
	v_lshlrev_b64 v[64:65], 3, v[0:1]
	v_mov_b32_e32 v1, s41
	v_add_co_u32_e32 v64, vcc, s40, v64
	v_addc_co_u32_e32 v65, vcc, v1, v65, vcc
	s_waitcnt vmcnt(0)
	global_store_dwordx2 v[64:65], v[32:33], off
	s_or_b64 exec, exec, s[30:31]
	s_and_saveexec_b64 s[30:31], s[0:1]
	s_cbranch_execz .LBB62_36
.LBB62_52:                              ;   in Loop: Header=BB62_3 Depth=1
	v_lshlrev_b64 v[34:35], 3, v[34:35]
	v_mov_b32_e32 v1, s41
	v_add_co_u32_e32 v34, vcc, s40, v34
	v_addc_co_u32_e32 v35, vcc, v1, v35, vcc
	s_waitcnt vmcnt(0)
	global_store_dwordx2 v[34:35], v[30:31], off
	s_or_b64 exec, exec, s[30:31]
	s_and_saveexec_b64 s[0:1], s[2:3]
	s_cbranch_execz .LBB62_37
.LBB62_53:                              ;   in Loop: Header=BB62_3 Depth=1
	v_lshlrev_b64 v[34:35], 3, v[36:37]
	v_mov_b32_e32 v1, s41
	v_add_co_u32_e32 v34, vcc, s40, v34
	v_addc_co_u32_e32 v35, vcc, v1, v35, vcc
	s_waitcnt vmcnt(0)
	global_store_dwordx2 v[34:35], v[28:29], off
	s_or_b64 exec, exec, s[0:1]
	s_and_saveexec_b64 s[0:1], s[4:5]
	s_cbranch_execz .LBB62_38
.LBB62_54:                              ;   in Loop: Header=BB62_3 Depth=1
	v_lshlrev_b64 v[34:35], 3, v[38:39]
	v_mov_b32_e32 v1, s41
	v_add_co_u32_e32 v34, vcc, s40, v34
	v_addc_co_u32_e32 v35, vcc, v1, v35, vcc
	s_waitcnt vmcnt(0)
	global_store_dwordx2 v[34:35], v[26:27], off
	s_or_b64 exec, exec, s[0:1]
	s_and_saveexec_b64 s[0:1], s[6:7]
	s_cbranch_execz .LBB62_39
.LBB62_55:                              ;   in Loop: Header=BB62_3 Depth=1
	v_lshlrev_b64 v[34:35], 3, v[40:41]
	v_mov_b32_e32 v1, s41
	v_add_co_u32_e32 v34, vcc, s40, v34
	v_addc_co_u32_e32 v35, vcc, v1, v35, vcc
	s_waitcnt vmcnt(0)
	global_store_dwordx2 v[34:35], v[24:25], off
	s_or_b64 exec, exec, s[0:1]
	s_and_saveexec_b64 s[0:1], s[8:9]
	s_cbranch_execz .LBB62_40
.LBB62_56:                              ;   in Loop: Header=BB62_3 Depth=1
	v_lshlrev_b64 v[34:35], 3, v[42:43]
	v_mov_b32_e32 v1, s41
	v_add_co_u32_e32 v34, vcc, s40, v34
	v_addc_co_u32_e32 v35, vcc, v1, v35, vcc
	s_waitcnt vmcnt(0)
	global_store_dwordx2 v[34:35], v[22:23], off
	s_or_b64 exec, exec, s[0:1]
	s_and_saveexec_b64 s[0:1], s[10:11]
	s_cbranch_execz .LBB62_41
.LBB62_57:                              ;   in Loop: Header=BB62_3 Depth=1
	v_lshlrev_b64 v[34:35], 3, v[44:45]
	v_mov_b32_e32 v1, s41
	v_add_co_u32_e32 v34, vcc, s40, v34
	v_addc_co_u32_e32 v35, vcc, v1, v35, vcc
	s_waitcnt vmcnt(0)
	global_store_dwordx2 v[34:35], v[20:21], off
	s_or_b64 exec, exec, s[0:1]
	s_and_saveexec_b64 s[0:1], s[12:13]
	s_cbranch_execz .LBB62_42
.LBB62_58:                              ;   in Loop: Header=BB62_3 Depth=1
	v_lshlrev_b64 v[34:35], 3, v[46:47]
	v_mov_b32_e32 v1, s41
	v_add_co_u32_e32 v34, vcc, s40, v34
	v_addc_co_u32_e32 v35, vcc, v1, v35, vcc
	s_waitcnt vmcnt(0)
	global_store_dwordx2 v[34:35], v[18:19], off
	s_or_b64 exec, exec, s[0:1]
	s_and_saveexec_b64 s[0:1], s[14:15]
	s_cbranch_execz .LBB62_43
.LBB62_59:                              ;   in Loop: Header=BB62_3 Depth=1
	v_lshlrev_b64 v[34:35], 3, v[48:49]
	v_mov_b32_e32 v1, s41
	v_add_co_u32_e32 v34, vcc, s40, v34
	v_addc_co_u32_e32 v35, vcc, v1, v35, vcc
	s_waitcnt vmcnt(0)
	global_store_dwordx2 v[34:35], v[16:17], off
	s_or_b64 exec, exec, s[0:1]
	s_and_saveexec_b64 s[0:1], s[16:17]
	s_cbranch_execz .LBB62_44
.LBB62_60:                              ;   in Loop: Header=BB62_3 Depth=1
	v_lshlrev_b64 v[34:35], 3, v[50:51]
	v_mov_b32_e32 v1, s41
	v_add_co_u32_e32 v34, vcc, s40, v34
	v_addc_co_u32_e32 v35, vcc, v1, v35, vcc
	s_waitcnt vmcnt(0)
	global_store_dwordx2 v[34:35], v[14:15], off
	s_or_b64 exec, exec, s[0:1]
	s_and_saveexec_b64 s[0:1], s[18:19]
	s_cbranch_execz .LBB62_45
.LBB62_61:                              ;   in Loop: Header=BB62_3 Depth=1
	v_lshlrev_b64 v[34:35], 3, v[52:53]
	v_mov_b32_e32 v1, s41
	v_add_co_u32_e32 v34, vcc, s40, v34
	v_addc_co_u32_e32 v35, vcc, v1, v35, vcc
	s_waitcnt vmcnt(0)
	global_store_dwordx2 v[34:35], v[12:13], off
	s_or_b64 exec, exec, s[0:1]
	s_and_saveexec_b64 s[0:1], s[20:21]
	s_cbranch_execz .LBB62_46
.LBB62_62:                              ;   in Loop: Header=BB62_3 Depth=1
	v_lshlrev_b64 v[34:35], 3, v[54:55]
	v_mov_b32_e32 v1, s41
	v_add_co_u32_e32 v34, vcc, s40, v34
	v_addc_co_u32_e32 v35, vcc, v1, v35, vcc
	s_waitcnt vmcnt(0)
	global_store_dwordx2 v[34:35], v[10:11], off
	s_or_b64 exec, exec, s[0:1]
	s_and_saveexec_b64 s[0:1], s[22:23]
	s_cbranch_execz .LBB62_47
.LBB62_63:                              ;   in Loop: Header=BB62_3 Depth=1
	v_lshlrev_b64 v[34:35], 3, v[56:57]
	v_mov_b32_e32 v1, s41
	v_add_co_u32_e32 v34, vcc, s40, v34
	v_addc_co_u32_e32 v35, vcc, v1, v35, vcc
	s_waitcnt vmcnt(0)
	global_store_dwordx2 v[34:35], v[8:9], off
	s_or_b64 exec, exec, s[0:1]
	s_and_saveexec_b64 s[0:1], s[24:25]
	s_cbranch_execz .LBB62_48
.LBB62_64:                              ;   in Loop: Header=BB62_3 Depth=1
	v_lshlrev_b64 v[34:35], 3, v[58:59]
	v_mov_b32_e32 v1, s41
	v_add_co_u32_e32 v34, vcc, s40, v34
	v_addc_co_u32_e32 v35, vcc, v1, v35, vcc
	s_waitcnt vmcnt(0)
	global_store_dwordx2 v[34:35], v[6:7], off
	s_or_b64 exec, exec, s[0:1]
	s_and_saveexec_b64 s[0:1], s[26:27]
	s_cbranch_execz .LBB62_49
.LBB62_65:                              ;   in Loop: Header=BB62_3 Depth=1
	v_lshlrev_b64 v[34:35], 3, v[60:61]
	v_mov_b32_e32 v1, s41
	v_add_co_u32_e32 v34, vcc, s40, v34
	v_addc_co_u32_e32 v35, vcc, v1, v35, vcc
	s_waitcnt vmcnt(0)
	global_store_dwordx2 v[34:35], v[4:5], off
	s_or_b64 exec, exec, s[0:1]
	s_and_saveexec_b64 s[0:1], s[28:29]
	s_cbranch_execz .LBB62_2
.LBB62_66:                              ;   in Loop: Header=BB62_3 Depth=1
	v_lshlrev_b64 v[34:35], 3, v[62:63]
	v_mov_b32_e32 v1, s41
	v_add_co_u32_e32 v34, vcc, s40, v34
	v_addc_co_u32_e32 v35, vcc, v1, v35, vcc
	s_waitcnt vmcnt(0)
	global_store_dwordx2 v[34:35], v[2:3], off
	s_branch .LBB62_2
.LBB62_67:
	s_endpgm
	.section	.rodata,"a",@progbits
	.p2align	6, 0x0
	.amdhsa_kernel _ZN9rocsolver6v33100L11stedc_copyCI19rocblas_complex_numIfEPS3_S4_EEviT0_iilT1_iil
		.amdhsa_group_segment_fixed_size 0
		.amdhsa_private_segment_fixed_size 0
		.amdhsa_kernarg_size 312
		.amdhsa_user_sgpr_count 6
		.amdhsa_user_sgpr_private_segment_buffer 1
		.amdhsa_user_sgpr_dispatch_ptr 0
		.amdhsa_user_sgpr_queue_ptr 0
		.amdhsa_user_sgpr_kernarg_segment_ptr 1
		.amdhsa_user_sgpr_dispatch_id 0
		.amdhsa_user_sgpr_flat_scratch_init 0
		.amdhsa_user_sgpr_private_segment_size 0
		.amdhsa_uses_dynamic_stack 0
		.amdhsa_system_sgpr_private_segment_wavefront_offset 0
		.amdhsa_system_sgpr_workgroup_id_x 1
		.amdhsa_system_sgpr_workgroup_id_y 1
		.amdhsa_system_sgpr_workgroup_id_z 0
		.amdhsa_system_sgpr_workgroup_info 0
		.amdhsa_system_vgpr_workitem_id 0
		.amdhsa_next_free_vgpr 66
		.amdhsa_next_free_sgpr 57
		.amdhsa_reserve_vcc 1
		.amdhsa_reserve_flat_scratch 0
		.amdhsa_float_round_mode_32 0
		.amdhsa_float_round_mode_16_64 0
		.amdhsa_float_denorm_mode_32 3
		.amdhsa_float_denorm_mode_16_64 3
		.amdhsa_dx10_clamp 1
		.amdhsa_ieee_mode 1
		.amdhsa_fp16_overflow 0
		.amdhsa_exception_fp_ieee_invalid_op 0
		.amdhsa_exception_fp_denorm_src 0
		.amdhsa_exception_fp_ieee_div_zero 0
		.amdhsa_exception_fp_ieee_overflow 0
		.amdhsa_exception_fp_ieee_underflow 0
		.amdhsa_exception_fp_ieee_inexact 0
		.amdhsa_exception_int_div_zero 0
	.end_amdhsa_kernel
	.section	.text._ZN9rocsolver6v33100L11stedc_copyCI19rocblas_complex_numIfEPS3_S4_EEviT0_iilT1_iil,"axG",@progbits,_ZN9rocsolver6v33100L11stedc_copyCI19rocblas_complex_numIfEPS3_S4_EEviT0_iilT1_iil,comdat
.Lfunc_end62:
	.size	_ZN9rocsolver6v33100L11stedc_copyCI19rocblas_complex_numIfEPS3_S4_EEviT0_iilT1_iil, .Lfunc_end62-_ZN9rocsolver6v33100L11stedc_copyCI19rocblas_complex_numIfEPS3_S4_EEviT0_iilT1_iil
                                        ; -- End function
	.set _ZN9rocsolver6v33100L11stedc_copyCI19rocblas_complex_numIfEPS3_S4_EEviT0_iilT1_iil.num_vgpr, 66
	.set _ZN9rocsolver6v33100L11stedc_copyCI19rocblas_complex_numIfEPS3_S4_EEviT0_iilT1_iil.num_agpr, 0
	.set _ZN9rocsolver6v33100L11stedc_copyCI19rocblas_complex_numIfEPS3_S4_EEviT0_iilT1_iil.numbered_sgpr, 57
	.set _ZN9rocsolver6v33100L11stedc_copyCI19rocblas_complex_numIfEPS3_S4_EEviT0_iilT1_iil.num_named_barrier, 0
	.set _ZN9rocsolver6v33100L11stedc_copyCI19rocblas_complex_numIfEPS3_S4_EEviT0_iilT1_iil.private_seg_size, 0
	.set _ZN9rocsolver6v33100L11stedc_copyCI19rocblas_complex_numIfEPS3_S4_EEviT0_iilT1_iil.uses_vcc, 1
	.set _ZN9rocsolver6v33100L11stedc_copyCI19rocblas_complex_numIfEPS3_S4_EEviT0_iilT1_iil.uses_flat_scratch, 0
	.set _ZN9rocsolver6v33100L11stedc_copyCI19rocblas_complex_numIfEPS3_S4_EEviT0_iilT1_iil.has_dyn_sized_stack, 0
	.set _ZN9rocsolver6v33100L11stedc_copyCI19rocblas_complex_numIfEPS3_S4_EEviT0_iilT1_iil.has_recursion, 0
	.set _ZN9rocsolver6v33100L11stedc_copyCI19rocblas_complex_numIfEPS3_S4_EEviT0_iilT1_iil.has_indirect_call, 0
	.section	.AMDGPU.csdata,"",@progbits
; Kernel info:
; codeLenInByte = 2444
; TotalNumSgprs: 61
; NumVgprs: 66
; ScratchSize: 0
; MemoryBound: 0
; FloatMode: 240
; IeeeMode: 1
; LDSByteSize: 0 bytes/workgroup (compile time only)
; SGPRBlocks: 7
; VGPRBlocks: 16
; NumSGPRsForWavesPerEU: 61
; NumVGPRsForWavesPerEU: 66
; Occupancy: 3
; WaveLimiterHint : 0
; COMPUTE_PGM_RSRC2:SCRATCH_EN: 0
; COMPUTE_PGM_RSRC2:USER_SGPR: 6
; COMPUTE_PGM_RSRC2:TRAP_HANDLER: 0
; COMPUTE_PGM_RSRC2:TGID_X_EN: 1
; COMPUTE_PGM_RSRC2:TGID_Y_EN: 1
; COMPUTE_PGM_RSRC2:TGID_Z_EN: 0
; COMPUTE_PGM_RSRC2:TIDIG_COMP_CNT: 0
	.section	.text._ZN9rocsolver6v33100L10stedc_sortI19rocblas_complex_numIfEfPS3_S4_EEviPT0_lS6_lT1_iilT2_iil,"axG",@progbits,_ZN9rocsolver6v33100L10stedc_sortI19rocblas_complex_numIfEfPS3_S4_EEviPT0_lS6_lT1_iilT2_iil,comdat
	.globl	_ZN9rocsolver6v33100L10stedc_sortI19rocblas_complex_numIfEfPS3_S4_EEviPT0_lS6_lT1_iilT2_iil ; -- Begin function _ZN9rocsolver6v33100L10stedc_sortI19rocblas_complex_numIfEfPS3_S4_EEviPT0_lS6_lT1_iilT2_iil
	.p2align	8
	.type	_ZN9rocsolver6v33100L10stedc_sortI19rocblas_complex_numIfEfPS3_S4_EEviPT0_lS6_lT1_iilT2_iil,@function
_ZN9rocsolver6v33100L10stedc_sortI19rocblas_complex_numIfEfPS3_S4_EEviPT0_lS6_lT1_iilT2_iil: ; @_ZN9rocsolver6v33100L10stedc_sortI19rocblas_complex_numIfEfPS3_S4_EEviPT0_lS6_lT1_iilT2_iil
; %bb.0:
	s_load_dwordx8 s[36:43], s[4:5], 0x8
	s_ashr_i32 s64, s7, 31
	s_load_dword s2, s[4:5], 0x64
	s_mov_b32 s33, s7
	s_load_dword s52, s[4:5], 0x0
	s_waitcnt lgkmcnt(0)
	s_mul_hi_u32 s0, s38, s7
	s_mul_i32 s1, s38, s64
	s_add_i32 s0, s0, s1
	s_mul_i32 s1, s39, s7
	s_add_i32 s1, s0, s1
	s_mul_i32 s0, s38, s7
	s_lshl_b64 s[0:1], s[0:1], 2
	s_add_u32 s66, s36, s0
	s_addc_u32 s67, s37, s1
	s_ashr_i32 s7, s6, 31
	s_lshl_b64 s[44:45], s[6:7], 2
	s_add_u32 s0, s66, s44
	s_addc_u32 s1, s67, s45
	s_and_b32 s50, s2, 0xffff
	s_lshl_b32 s51, s50, 4
	v_cvt_f32_u32_e32 v1, s51
	s_sub_i32 s2, 0, s51
	s_load_dwordx2 s[38:39], s[4:5], 0x28
	s_load_dword s65, s[0:1], 0x0
	s_add_i32 s0, s52, -1
	v_rcp_iflag_f32_e32 v1, v1
	s_ashr_i32 s1, s0, 31
	s_abs_i32 s0, s0
	s_mul_i32 s53, s50, 3
	v_mul_f32_e32 v1, 0x4f7ffffe, v1
	v_cvt_u32_f32_e32 v1, v1
	s_mul_i32 s54, s50, 5
	s_mul_i32 s55, s50, 6
	;; [unrolled: 1-line block ×3, first 2 shown]
	v_readfirstlane_b32 s3, v1
	s_mul_i32 s2, s2, s3
	s_mul_hi_u32 s2, s3, s2
	s_add_i32 s3, s3, s2
	s_mul_hi_u32 s2, s0, s3
	s_mul_i32 s3, s2, s51
	s_sub_i32 s0, s0, s3
	s_add_i32 s3, s2, 1
	s_sub_i32 s7, s0, s51
	s_cmp_ge_u32 s0, s51
	s_cselect_b32 s2, s3, s2
	s_cselect_b32 s0, s7, s0
	s_add_i32 s3, s2, 1
	s_cmp_ge_u32 s0, s51
	s_cselect_b32 s0, s3, s2
	s_xor_b32 s0, s0, s1
	s_sub_i32 s7, s0, s1
	s_cmp_gt_i32 s7, -1
	s_cselect_b64 s[46:47], -1, 0
	s_cmp_lt_i32 s7, 0
	s_mul_i32 s57, s50, 9
	s_mul_i32 s58, s50, 10
	;; [unrolled: 1-line block ×7, first 2 shown]
	s_cbranch_scc1 .LBB63_67
; %bb.1:
	s_add_i32 s68, s7, 1
	s_lshl_b32 s69, s50, 1
	s_lshl_b32 s70, s50, 2
	;; [unrolled: 1-line block ×3, first 2 shown]
	v_mov_b32_e32 v47, 0
	v_mov_b32_e32 v18, v0
	;; [unrolled: 1-line block ×4, first 2 shown]
                                        ; implicit-def: $vgpr3
                                        ; implicit-def: $vgpr5
                                        ; implicit-def: $vgpr7
                                        ; implicit-def: $vgpr9
                                        ; implicit-def: $vgpr11
                                        ; implicit-def: $vgpr13
                                        ; implicit-def: $vgpr15
                                        ; implicit-def: $vgpr17
	s_branch .LBB63_3
.LBB63_2:                               ;   in Loop: Header=BB63_3 Depth=1
	s_or_b64 exec, exec, s[2:3]
	s_add_i32 s68, s68, -1
	s_cmp_eq_u32 s68, 0
	v_add_u32_e32 v18, s51, v18
	s_cbranch_scc1 .LBB63_68
.LBB63_3:                               ; =>This Inner Loop Header: Depth=1
	v_cmp_gt_i32_e64 s[34:35], s52, v18
	s_and_saveexec_b64 s[0:1], s[34:35]
	s_cbranch_execz .LBB63_5
; %bb.4:                                ;   in Loop: Header=BB63_3 Depth=1
	v_ashrrev_i32_e32 v19, 31, v18
	v_lshlrev_b64 v[19:20], 2, v[18:19]
	v_mov_b32_e32 v1, s67
	v_add_co_u32_e32 v19, vcc, s66, v19
	v_addc_co_u32_e32 v20, vcc, v1, v20, vcc
	global_load_dword v16, v[19:20], off
.LBB63_5:                               ;   in Loop: Header=BB63_3 Depth=1
	s_or_b64 exec, exec, s[0:1]
	v_add_u32_e32 v45, s50, v18
	v_cmp_gt_i32_e64 s[30:31], s52, v45
	s_and_saveexec_b64 s[0:1], s[30:31]
	s_cbranch_execz .LBB63_7
; %bb.6:                                ;   in Loop: Header=BB63_3 Depth=1
	v_ashrrev_i32_e32 v46, 31, v45
	v_lshlrev_b64 v[19:20], 2, v[45:46]
	v_mov_b32_e32 v1, s67
	v_add_co_u32_e32 v19, vcc, s66, v19
	v_addc_co_u32_e32 v20, vcc, v1, v20, vcc
	global_load_dword v17, v[19:20], off
.LBB63_7:                               ;   in Loop: Header=BB63_3 Depth=1
	s_or_b64 exec, exec, s[0:1]
	v_add_u32_e32 v43, s69, v18
	;; [unrolled: 13-line block ×3, first 2 shown]
	v_cmp_gt_i32_e64 s[26:27], s52, v41
	s_and_saveexec_b64 s[0:1], s[26:27]
	s_cbranch_execz .LBB63_11
; %bb.10:                               ;   in Loop: Header=BB63_3 Depth=1
	v_ashrrev_i32_e32 v42, 31, v41
	v_lshlrev_b64 v[19:20], 2, v[41:42]
	v_mov_b32_e32 v1, s67
	v_add_co_u32_e32 v19, vcc, s66, v19
	v_addc_co_u32_e32 v20, vcc, v1, v20, vcc
	global_load_dword v15, v[19:20], off
.LBB63_11:                              ;   in Loop: Header=BB63_3 Depth=1
	s_or_b64 exec, exec, s[0:1]
	v_add_u32_e32 v39, s70, v18
	v_cmp_gt_i32_e64 s[24:25], s52, v39
	s_and_saveexec_b64 s[0:1], s[24:25]
	s_cbranch_execz .LBB63_13
; %bb.12:                               ;   in Loop: Header=BB63_3 Depth=1
	v_ashrrev_i32_e32 v40, 31, v39
	v_lshlrev_b64 v[19:20], 2, v[39:40]
	v_mov_b32_e32 v1, s67
	v_add_co_u32_e32 v19, vcc, s66, v19
	v_addc_co_u32_e32 v20, vcc, v1, v20, vcc
	global_load_dword v12, v[19:20], off
.LBB63_13:                              ;   in Loop: Header=BB63_3 Depth=1
	s_or_b64 exec, exec, s[0:1]
	v_add_u32_e32 v37, s54, v18
	;; [unrolled: 13-line block ×11, first 2 shown]
	v_cmp_gt_i32_e64 s[0:1], s52, v1
	s_and_saveexec_b64 s[36:37], s[0:1]
	s_cbranch_execz .LBB63_33
; %bb.32:                               ;   in Loop: Header=BB63_3 Depth=1
	s_waitcnt vmcnt(0)
	v_ashrrev_i32_e32 v2, 31, v1
	v_lshlrev_b64 v[19:20], 2, v[1:2]
	v_mov_b32_e32 v2, s67
	v_add_co_u32_e32 v19, vcc, s66, v19
	v_addc_co_u32_e32 v20, vcc, v2, v20, vcc
	global_load_dword v2, v[19:20], off
.LBB63_33:                              ;   in Loop: Header=BB63_3 Depth=1
	s_or_b64 exec, exec, s[36:37]
	v_add_u32_e32 v19, s63, v18
	v_cmp_gt_i32_e32 vcc, s52, v19
	s_and_saveexec_b64 s[48:49], vcc
	s_cbranch_execnz .LBB63_50
; %bb.34:                               ;   in Loop: Header=BB63_3 Depth=1
	s_or_b64 exec, exec, s[48:49]
	s_and_saveexec_b64 s[48:49], s[34:35]
	s_cbranch_execnz .LBB63_51
.LBB63_35:                              ;   in Loop: Header=BB63_3 Depth=1
	s_or_b64 exec, exec, s[48:49]
	s_and_saveexec_b64 s[36:37], s[30:31]
	s_cbranch_execnz .LBB63_52
.LBB63_36:                              ;   in Loop: Header=BB63_3 Depth=1
	s_or_b64 exec, exec, s[36:37]
	s_and_saveexec_b64 s[34:35], s[28:29]
	s_cbranch_execnz .LBB63_53
.LBB63_37:                              ;   in Loop: Header=BB63_3 Depth=1
	s_or_b64 exec, exec, s[34:35]
	s_and_saveexec_b64 s[30:31], s[26:27]
	s_cbranch_execnz .LBB63_54
.LBB63_38:                              ;   in Loop: Header=BB63_3 Depth=1
	s_or_b64 exec, exec, s[30:31]
	s_and_saveexec_b64 s[28:29], s[24:25]
	s_cbranch_execnz .LBB63_55
.LBB63_39:                              ;   in Loop: Header=BB63_3 Depth=1
	s_or_b64 exec, exec, s[28:29]
	s_and_saveexec_b64 s[26:27], s[22:23]
	s_cbranch_execnz .LBB63_56
.LBB63_40:                              ;   in Loop: Header=BB63_3 Depth=1
	s_or_b64 exec, exec, s[26:27]
	s_and_saveexec_b64 s[24:25], s[20:21]
	s_cbranch_execnz .LBB63_57
.LBB63_41:                              ;   in Loop: Header=BB63_3 Depth=1
	s_or_b64 exec, exec, s[24:25]
	s_and_saveexec_b64 s[22:23], s[18:19]
	s_cbranch_execnz .LBB63_58
.LBB63_42:                              ;   in Loop: Header=BB63_3 Depth=1
	s_or_b64 exec, exec, s[22:23]
	s_and_saveexec_b64 s[20:21], s[16:17]
	s_cbranch_execnz .LBB63_59
.LBB63_43:                              ;   in Loop: Header=BB63_3 Depth=1
	s_or_b64 exec, exec, s[20:21]
	s_and_saveexec_b64 s[18:19], s[14:15]
	s_cbranch_execnz .LBB63_60
.LBB63_44:                              ;   in Loop: Header=BB63_3 Depth=1
	s_or_b64 exec, exec, s[18:19]
	s_and_saveexec_b64 s[16:17], s[12:13]
	s_cbranch_execnz .LBB63_61
.LBB63_45:                              ;   in Loop: Header=BB63_3 Depth=1
	s_or_b64 exec, exec, s[16:17]
	s_and_saveexec_b64 s[14:15], s[10:11]
	s_cbranch_execnz .LBB63_62
.LBB63_46:                              ;   in Loop: Header=BB63_3 Depth=1
	s_or_b64 exec, exec, s[14:15]
	s_and_saveexec_b64 s[12:13], s[8:9]
	s_cbranch_execnz .LBB63_63
.LBB63_47:                              ;   in Loop: Header=BB63_3 Depth=1
	s_or_b64 exec, exec, s[12:13]
	s_and_saveexec_b64 s[10:11], s[2:3]
	s_cbranch_execnz .LBB63_64
.LBB63_48:                              ;   in Loop: Header=BB63_3 Depth=1
	s_or_b64 exec, exec, s[10:11]
	s_and_saveexec_b64 s[8:9], s[0:1]
	s_cbranch_execnz .LBB63_65
.LBB63_49:                              ;   in Loop: Header=BB63_3 Depth=1
	s_or_b64 exec, exec, s[8:9]
	s_and_saveexec_b64 s[2:3], vcc
	s_cbranch_execz .LBB63_2
	s_branch .LBB63_66
.LBB63_50:                              ;   in Loop: Header=BB63_3 Depth=1
	v_ashrrev_i32_e32 v20, 31, v19
	v_lshlrev_b64 v[50:51], 2, v[19:20]
	s_waitcnt vmcnt(0)
	v_mov_b32_e32 v3, s67
	v_add_co_u32_e64 v50, s[36:37], s66, v50
	v_addc_co_u32_e64 v51, s[36:37], v3, v51, s[36:37]
	global_load_dword v3, v[50:51], off
	s_or_b64 exec, exec, s[48:49]
	s_and_saveexec_b64 s[48:49], s[34:35]
	s_cbranch_execz .LBB63_35
.LBB63_51:                              ;   in Loop: Header=BB63_3 Depth=1
	s_waitcnt vmcnt(0)
	v_cmp_u_f32_e64 s[34:35], v16, v16
	v_addc_co_u32_e64 v47, s[34:35], 0, v47, s[34:35]
	s_waitcnt lgkmcnt(0)
	v_cmp_gt_f32_e64 s[34:35], s65, v16
	v_addc_co_u32_e64 v48, s[34:35], 0, v48, s[34:35]
	v_cmp_eq_f32_e64 s[34:35], s65, v16
	v_cmp_gt_i32_e64 s[36:37], s6, v18
	s_and_b64 s[34:35], s[36:37], s[34:35]
	v_addc_co_u32_e64 v49, s[34:35], 0, v49, s[34:35]
	s_or_b64 exec, exec, s[48:49]
	s_and_saveexec_b64 s[36:37], s[30:31]
	s_cbranch_execz .LBB63_36
.LBB63_52:                              ;   in Loop: Header=BB63_3 Depth=1
	s_waitcnt vmcnt(0)
	v_cmp_u_f32_e64 s[30:31], v17, v17
	v_addc_co_u32_e64 v47, s[30:31], 0, v47, s[30:31]
	s_waitcnt lgkmcnt(0)
	v_cmp_gt_f32_e64 s[30:31], s65, v17
	v_addc_co_u32_e64 v48, s[30:31], 0, v48, s[30:31]
	v_cmp_eq_f32_e64 s[30:31], s65, v17
	v_cmp_gt_i32_e64 s[34:35], s6, v45
	s_and_b64 s[30:31], s[34:35], s[30:31]
	v_addc_co_u32_e64 v49, s[30:31], 0, v49, s[30:31]
	s_or_b64 exec, exec, s[36:37]
	s_and_saveexec_b64 s[34:35], s[28:29]
	s_cbranch_execz .LBB63_37
.LBB63_53:                              ;   in Loop: Header=BB63_3 Depth=1
	s_waitcnt vmcnt(0)
	v_cmp_u_f32_e64 s[28:29], v14, v14
	v_addc_co_u32_e64 v47, s[28:29], 0, v47, s[28:29]
	s_waitcnt lgkmcnt(0)
	v_cmp_gt_f32_e64 s[28:29], s65, v14
	v_addc_co_u32_e64 v48, s[28:29], 0, v48, s[28:29]
	v_cmp_eq_f32_e64 s[28:29], s65, v14
	v_cmp_gt_i32_e64 s[30:31], s6, v43
	s_and_b64 s[28:29], s[30:31], s[28:29]
	v_addc_co_u32_e64 v49, s[28:29], 0, v49, s[28:29]
	s_or_b64 exec, exec, s[34:35]
	s_and_saveexec_b64 s[30:31], s[26:27]
	s_cbranch_execz .LBB63_38
.LBB63_54:                              ;   in Loop: Header=BB63_3 Depth=1
	s_waitcnt vmcnt(0)
	v_cmp_u_f32_e64 s[26:27], v15, v15
	v_addc_co_u32_e64 v47, s[26:27], 0, v47, s[26:27]
	s_waitcnt lgkmcnt(0)
	v_cmp_gt_f32_e64 s[26:27], s65, v15
	v_addc_co_u32_e64 v48, s[26:27], 0, v48, s[26:27]
	v_cmp_eq_f32_e64 s[26:27], s65, v15
	v_cmp_gt_i32_e64 s[28:29], s6, v41
	s_and_b64 s[26:27], s[28:29], s[26:27]
	v_addc_co_u32_e64 v49, s[26:27], 0, v49, s[26:27]
	s_or_b64 exec, exec, s[30:31]
	s_and_saveexec_b64 s[28:29], s[24:25]
	s_cbranch_execz .LBB63_39
.LBB63_55:                              ;   in Loop: Header=BB63_3 Depth=1
	s_waitcnt vmcnt(0)
	v_cmp_u_f32_e64 s[24:25], v12, v12
	v_addc_co_u32_e64 v47, s[24:25], 0, v47, s[24:25]
	s_waitcnt lgkmcnt(0)
	v_cmp_gt_f32_e64 s[24:25], s65, v12
	v_addc_co_u32_e64 v48, s[24:25], 0, v48, s[24:25]
	v_cmp_eq_f32_e64 s[24:25], s65, v12
	v_cmp_gt_i32_e64 s[26:27], s6, v39
	s_and_b64 s[24:25], s[26:27], s[24:25]
	v_addc_co_u32_e64 v49, s[24:25], 0, v49, s[24:25]
	s_or_b64 exec, exec, s[28:29]
	s_and_saveexec_b64 s[26:27], s[22:23]
	s_cbranch_execz .LBB63_40
.LBB63_56:                              ;   in Loop: Header=BB63_3 Depth=1
	s_waitcnt vmcnt(0)
	v_cmp_u_f32_e64 s[22:23], v13, v13
	v_addc_co_u32_e64 v47, s[22:23], 0, v47, s[22:23]
	s_waitcnt lgkmcnt(0)
	v_cmp_gt_f32_e64 s[22:23], s65, v13
	v_addc_co_u32_e64 v48, s[22:23], 0, v48, s[22:23]
	v_cmp_eq_f32_e64 s[22:23], s65, v13
	v_cmp_gt_i32_e64 s[24:25], s6, v37
	s_and_b64 s[22:23], s[24:25], s[22:23]
	v_addc_co_u32_e64 v49, s[22:23], 0, v49, s[22:23]
	s_or_b64 exec, exec, s[26:27]
	s_and_saveexec_b64 s[24:25], s[20:21]
	s_cbranch_execz .LBB63_41
.LBB63_57:                              ;   in Loop: Header=BB63_3 Depth=1
	s_waitcnt vmcnt(0)
	v_cmp_u_f32_e64 s[20:21], v10, v10
	v_addc_co_u32_e64 v47, s[20:21], 0, v47, s[20:21]
	s_waitcnt lgkmcnt(0)
	v_cmp_gt_f32_e64 s[20:21], s65, v10
	v_addc_co_u32_e64 v48, s[20:21], 0, v48, s[20:21]
	v_cmp_eq_f32_e64 s[20:21], s65, v10
	v_cmp_gt_i32_e64 s[22:23], s6, v35
	s_and_b64 s[20:21], s[22:23], s[20:21]
	v_addc_co_u32_e64 v49, s[20:21], 0, v49, s[20:21]
	s_or_b64 exec, exec, s[24:25]
	s_and_saveexec_b64 s[22:23], s[18:19]
	s_cbranch_execz .LBB63_42
.LBB63_58:                              ;   in Loop: Header=BB63_3 Depth=1
	s_waitcnt vmcnt(0)
	v_cmp_u_f32_e64 s[18:19], v11, v11
	v_addc_co_u32_e64 v47, s[18:19], 0, v47, s[18:19]
	s_waitcnt lgkmcnt(0)
	v_cmp_gt_f32_e64 s[18:19], s65, v11
	v_addc_co_u32_e64 v48, s[18:19], 0, v48, s[18:19]
	v_cmp_eq_f32_e64 s[18:19], s65, v11
	v_cmp_gt_i32_e64 s[20:21], s6, v33
	s_and_b64 s[18:19], s[20:21], s[18:19]
	v_addc_co_u32_e64 v49, s[18:19], 0, v49, s[18:19]
	s_or_b64 exec, exec, s[22:23]
	s_and_saveexec_b64 s[20:21], s[16:17]
	s_cbranch_execz .LBB63_43
.LBB63_59:                              ;   in Loop: Header=BB63_3 Depth=1
	s_waitcnt vmcnt(0)
	v_cmp_u_f32_e64 s[16:17], v8, v8
	v_addc_co_u32_e64 v47, s[16:17], 0, v47, s[16:17]
	s_waitcnt lgkmcnt(0)
	v_cmp_gt_f32_e64 s[16:17], s65, v8
	v_addc_co_u32_e64 v48, s[16:17], 0, v48, s[16:17]
	v_cmp_eq_f32_e64 s[16:17], s65, v8
	v_cmp_gt_i32_e64 s[18:19], s6, v31
	s_and_b64 s[16:17], s[18:19], s[16:17]
	v_addc_co_u32_e64 v49, s[16:17], 0, v49, s[16:17]
	s_or_b64 exec, exec, s[20:21]
	s_and_saveexec_b64 s[18:19], s[14:15]
	s_cbranch_execz .LBB63_44
.LBB63_60:                              ;   in Loop: Header=BB63_3 Depth=1
	s_waitcnt vmcnt(0)
	v_cmp_u_f32_e64 s[14:15], v9, v9
	v_addc_co_u32_e64 v47, s[14:15], 0, v47, s[14:15]
	s_waitcnt lgkmcnt(0)
	v_cmp_gt_f32_e64 s[14:15], s65, v9
	v_addc_co_u32_e64 v48, s[14:15], 0, v48, s[14:15]
	v_cmp_eq_f32_e64 s[14:15], s65, v9
	v_cmp_gt_i32_e64 s[16:17], s6, v29
	s_and_b64 s[14:15], s[16:17], s[14:15]
	v_addc_co_u32_e64 v49, s[14:15], 0, v49, s[14:15]
	s_or_b64 exec, exec, s[18:19]
	s_and_saveexec_b64 s[16:17], s[12:13]
	s_cbranch_execz .LBB63_45
.LBB63_61:                              ;   in Loop: Header=BB63_3 Depth=1
	s_waitcnt vmcnt(0)
	v_cmp_u_f32_e64 s[12:13], v6, v6
	v_addc_co_u32_e64 v47, s[12:13], 0, v47, s[12:13]
	s_waitcnt lgkmcnt(0)
	v_cmp_gt_f32_e64 s[12:13], s65, v6
	v_addc_co_u32_e64 v48, s[12:13], 0, v48, s[12:13]
	v_cmp_eq_f32_e64 s[12:13], s65, v6
	v_cmp_gt_i32_e64 s[14:15], s6, v27
	s_and_b64 s[12:13], s[14:15], s[12:13]
	v_addc_co_u32_e64 v49, s[12:13], 0, v49, s[12:13]
	s_or_b64 exec, exec, s[16:17]
	s_and_saveexec_b64 s[14:15], s[10:11]
	s_cbranch_execz .LBB63_46
.LBB63_62:                              ;   in Loop: Header=BB63_3 Depth=1
	s_waitcnt vmcnt(0)
	v_cmp_u_f32_e64 s[10:11], v7, v7
	v_addc_co_u32_e64 v47, s[10:11], 0, v47, s[10:11]
	s_waitcnt lgkmcnt(0)
	v_cmp_gt_f32_e64 s[10:11], s65, v7
	v_addc_co_u32_e64 v48, s[10:11], 0, v48, s[10:11]
	v_cmp_eq_f32_e64 s[10:11], s65, v7
	v_cmp_gt_i32_e64 s[12:13], s6, v25
	s_and_b64 s[10:11], s[12:13], s[10:11]
	v_addc_co_u32_e64 v49, s[10:11], 0, v49, s[10:11]
	s_or_b64 exec, exec, s[14:15]
	s_and_saveexec_b64 s[12:13], s[8:9]
	s_cbranch_execz .LBB63_47
.LBB63_63:                              ;   in Loop: Header=BB63_3 Depth=1
	s_waitcnt vmcnt(0)
	v_cmp_u_f32_e64 s[8:9], v4, v4
	v_addc_co_u32_e64 v47, s[8:9], 0, v47, s[8:9]
	s_waitcnt lgkmcnt(0)
	v_cmp_gt_f32_e64 s[8:9], s65, v4
	v_addc_co_u32_e64 v48, s[8:9], 0, v48, s[8:9]
	v_cmp_eq_f32_e64 s[8:9], s65, v4
	v_cmp_gt_i32_e64 s[10:11], s6, v23
	s_and_b64 s[8:9], s[10:11], s[8:9]
	v_addc_co_u32_e64 v49, s[8:9], 0, v49, s[8:9]
	s_or_b64 exec, exec, s[12:13]
	s_and_saveexec_b64 s[10:11], s[2:3]
	s_cbranch_execz .LBB63_48
.LBB63_64:                              ;   in Loop: Header=BB63_3 Depth=1
	s_waitcnt vmcnt(0)
	v_cmp_u_f32_e64 s[2:3], v5, v5
	v_addc_co_u32_e64 v47, s[2:3], 0, v47, s[2:3]
	s_waitcnt lgkmcnt(0)
	v_cmp_gt_f32_e64 s[2:3], s65, v5
	v_addc_co_u32_e64 v48, s[2:3], 0, v48, s[2:3]
	v_cmp_eq_f32_e64 s[2:3], s65, v5
	v_cmp_gt_i32_e64 s[8:9], s6, v21
	s_and_b64 s[2:3], s[8:9], s[2:3]
	v_addc_co_u32_e64 v49, s[2:3], 0, v49, s[2:3]
	s_or_b64 exec, exec, s[10:11]
	s_and_saveexec_b64 s[8:9], s[0:1]
	s_cbranch_execz .LBB63_49
.LBB63_65:                              ;   in Loop: Header=BB63_3 Depth=1
	s_waitcnt vmcnt(0)
	v_cmp_u_f32_e64 s[0:1], v2, v2
	v_addc_co_u32_e64 v47, s[0:1], 0, v47, s[0:1]
	s_waitcnt lgkmcnt(0)
	v_cmp_gt_f32_e64 s[0:1], s65, v2
	v_addc_co_u32_e64 v48, s[0:1], 0, v48, s[0:1]
	v_cmp_eq_f32_e64 s[0:1], s65, v2
	v_cmp_gt_i32_e64 s[2:3], s6, v1
	s_and_b64 s[0:1], s[2:3], s[0:1]
	v_addc_co_u32_e64 v49, s[0:1], 0, v49, s[0:1]
	s_or_b64 exec, exec, s[8:9]
	s_and_saveexec_b64 s[2:3], vcc
	s_cbranch_execz .LBB63_2
.LBB63_66:                              ;   in Loop: Header=BB63_3 Depth=1
	s_waitcnt vmcnt(0)
	v_cmp_u_f32_e32 vcc, v3, v3
	v_addc_co_u32_e32 v47, vcc, 0, v47, vcc
	s_waitcnt lgkmcnt(0)
	v_cmp_gt_f32_e32 vcc, s65, v3
	v_addc_co_u32_e32 v48, vcc, 0, v48, vcc
	v_cmp_eq_f32_e32 vcc, s65, v3
	v_cmp_gt_i32_e64 s[0:1], s6, v19
	s_and_b64 vcc, s[0:1], vcc
	v_addc_co_u32_e32 v49, vcc, 0, v49, vcc
	s_branch .LBB63_2
.LBB63_67:
	s_mov_b64 s[0:1], -1
	v_mov_b32_e32 v1, 0
                                        ; implicit-def: $vgpr16
                                        ; implicit-def: $vgpr14
                                        ; implicit-def: $vgpr12
                                        ; implicit-def: $vgpr10
                                        ; implicit-def: $vgpr8
                                        ; implicit-def: $vgpr6
                                        ; implicit-def: $vgpr4
                                        ; implicit-def: $vgpr2
	v_lshlrev_b32_e32 v18, 2, v0
	s_cmp_lt_u32 s50, 2
	ds_write_b32 v18, v1
	s_cbranch_scc0 .LBB63_69
	s_branch .LBB63_73
.LBB63_68:
	v_add_u32_e32 v1, v48, v49
	v_cmp_eq_u32_e64 s[0:1], 0, v47
	v_lshlrev_b32_e32 v18, 2, v0
	s_cmp_lt_u32 s50, 2
	ds_write_b32 v18, v1
	s_cbranch_scc1 .LBB63_73
.LBB63_69:
	s_mov_b32 s8, s50
	s_branch .LBB63_71
.LBB63_70:                              ;   in Loop: Header=BB63_71 Depth=1
	s_or_b64 exec, exec, s[2:3]
	s_cmp_lt_u32 s8, 4
	s_mov_b32 s8, s9
	s_cbranch_scc1 .LBB63_73
.LBB63_71:                              ; =>This Inner Loop Header: Depth=1
	s_lshr_b32 s9, s8, 1
	v_cmp_gt_u32_e32 vcc, s9, v0
	s_waitcnt vmcnt(0) lgkmcnt(0)
	s_barrier
	s_and_saveexec_b64 s[2:3], vcc
	s_cbranch_execz .LBB63_70
; %bb.72:                               ;   in Loop: Header=BB63_71 Depth=1
	v_lshl_add_u32 v19, s9, 2, v18
	ds_read_b32 v19, v19
	s_waitcnt lgkmcnt(0)
	v_add_u32_e32 v1, v19, v1
	ds_write_b32 v18, v1
	s_branch .LBB63_70
.LBB63_73:
	v_mov_b32_e32 v1, 0
	s_xor_b64 s[2:3], s[0:1], -1
	s_mul_i32 s0, s42, s64
	s_mul_hi_u32 s1, s42, s33
	s_waitcnt vmcnt(0) lgkmcnt(0)
	s_barrier
	ds_read_b32 v18, v1
	s_add_i32 s0, s1, s0
	s_mul_i32 s1, s43, s33
	s_add_i32 s1, s0, s1
	s_mul_i32 s0, s42, s33
	s_lshl_b64 s[0:1], s[0:1], 2
	s_add_u32 s10, s40, s0
	s_addc_u32 s11, s41, s1
	s_waitcnt lgkmcnt(0)
	v_readfirstlane_b32 s0, v18
	v_cmp_eq_u32_e32 vcc, 0, v0
	s_and_saveexec_b64 s[8:9], vcc
	s_cbranch_execnz .LBB63_76
; %bb.74:
	s_or_b64 exec, exec, s[8:9]
	s_and_saveexec_b64 s[8:9], s[2:3]
	s_cbranch_execnz .LBB63_77
.LBB63_75:
	s_or_b64 exec, exec, s[8:9]
	s_andn2_b64 vcc, exec, s[46:47]
	s_cbranch_vccz .LBB63_78
	s_branch .LBB63_144
.LBB63_76:
	s_ashr_i32 s1, s0, 31
	s_lshl_b64 s[12:13], s[0:1], 2
	s_add_u32 s12, s10, s12
	s_addc_u32 s13, s11, s13
	v_mov_b32_e32 v18, s65
	global_store_dword v1, v18, s[12:13]
	s_or_b64 exec, exec, s[8:9]
	s_and_saveexec_b64 s[8:9], s[2:3]
	s_cbranch_execz .LBB63_75
.LBB63_77:
	s_add_u32 s2, s10, s44
	s_addc_u32 s3, s11, s45
	v_mov_b32_e32 v1, 0
	v_mov_b32_e32 v18, 0x7fc00000
	global_store_dword v1, v18, s[2:3]
	s_or_b64 exec, exec, s[8:9]
	s_andn2_b64 vcc, exec, s[46:47]
	s_cbranch_vccnz .LBB63_144
.LBB63_78:
	s_load_dwordx2 s[2:3], s[4:5], 0x30
	s_load_dwordx8 s[8:15], s[4:5], 0x38
                                        ; implicit-def: $vgpr18_vgpr19
                                        ; implicit-def: $vgpr20_vgpr21
                                        ; implicit-def: $vgpr22_vgpr23
                                        ; implicit-def: $vgpr24_vgpr25
                                        ; implicit-def: $vgpr26_vgpr27
                                        ; implicit-def: $vgpr28_vgpr29
                                        ; implicit-def: $vgpr30_vgpr31
                                        ; implicit-def: $vgpr32_vgpr33
	s_waitcnt lgkmcnt(0)
	s_ashr_i32 s5, s2, 31
	s_mov_b32 s4, s2
	s_mul_i32 s1, s8, s64
	s_mul_hi_u32 s2, s8, s33
	s_add_i32 s1, s2, s1
	s_mul_i32 s2, s9, s33
	s_add_i32 s9, s1, s2
	s_mul_i32 s8, s8, s33
	s_lshl_b64 s[8:9], s[8:9], 3
	s_add_u32 s1, s38, s8
	s_addc_u32 s2, s39, s9
	s_lshl_b64 s[4:5], s[4:5], 3
	s_add_u32 s1, s1, s4
	s_addc_u32 s16, s2, s5
	s_mul_i32 s2, s14, s64
	s_mul_hi_u32 s8, s14, s33
	s_add_i32 s2, s8, s2
	s_mul_i32 s8, s15, s33
	s_add_i32 s9, s2, s8
	s_mul_i32 s8, s14, s33
	s_ashr_i32 s5, s12, 31
	s_lshl_b64 s[8:9], s[8:9], 3
	s_mov_b32 s4, s12
	s_add_u32 s2, s10, s8
	s_addc_u32 s8, s11, s9
	s_lshl_b64 s[4:5], s[4:5], 3
	s_add_u32 s4, s2, s4
	s_mul_i32 s2, s3, s6
	s_addc_u32 s5, s8, s5
	s_ashr_i32 s3, s2, 31
	s_lshl_b64 s[2:3], s[2:3], 3
	s_add_u32 s33, s1, s2
	s_mul_i32 s0, s0, s13
	s_addc_u32 s36, s16, s3
	s_ashr_i32 s1, s0, 31
	s_lshl_b64 s[0:1], s[0:1], 3
	s_add_u32 s37, s4, s0
	s_addc_u32 s38, s5, s1
	s_add_i32 s39, s7, 1
	s_lshl_b32 s40, s50, 1
	s_lshl_b32 s41, s50, 2
	;; [unrolled: 1-line block ×3, first 2 shown]
	s_branch .LBB63_80
.LBB63_79:                              ;   in Loop: Header=BB63_80 Depth=1
	s_or_b64 exec, exec, s[0:1]
	s_add_i32 s39, s39, -1
	s_cmp_eq_u32 s39, 0
	v_add_u32_e32 v0, s51, v0
	s_cbranch_scc1 .LBB63_144
.LBB63_80:                              ; =>This Inner Loop Header: Depth=1
	v_cmp_gt_i32_e32 vcc, s52, v0
	v_ashrrev_i32_e32 v1, 31, v0
	s_and_saveexec_b64 s[2:3], vcc
	s_cbranch_execz .LBB63_82
; %bb.81:                               ;   in Loop: Header=BB63_80 Depth=1
	s_waitcnt vmcnt(0)
	v_lshlrev_b64 v[16:17], 3, v[0:1]
	v_mov_b32_e32 v34, s36
	v_add_co_u32_e64 v16, s[0:1], s33, v16
	v_addc_co_u32_e64 v17, s[0:1], v34, v17, s[0:1]
	global_load_dwordx2 v[16:17], v[16:17], off
.LBB63_82:                              ;   in Loop: Header=BB63_80 Depth=1
	s_or_b64 exec, exec, s[2:3]
	v_add_u32_e32 v34, s50, v0
	v_cmp_gt_i32_e64 s[0:1], s52, v34
	v_ashrrev_i32_e32 v35, 31, v34
	s_and_saveexec_b64 s[4:5], s[0:1]
	s_cbranch_execz .LBB63_84
; %bb.83:                               ;   in Loop: Header=BB63_80 Depth=1
	s_waitcnt vmcnt(0)
	v_lshlrev_b64 v[14:15], 3, v[34:35]
	v_mov_b32_e32 v36, s36
	v_add_co_u32_e64 v14, s[2:3], s33, v14
	v_addc_co_u32_e64 v15, s[2:3], v36, v15, s[2:3]
	global_load_dwordx2 v[14:15], v[14:15], off
.LBB63_84:                              ;   in Loop: Header=BB63_80 Depth=1
	s_or_b64 exec, exec, s[4:5]
	v_add_u32_e32 v36, s40, v0
	v_add_u32_e32 v39, s50, v34
	v_cmp_gt_i32_e64 s[2:3], s52, v39
	v_ashrrev_i32_e32 v37, 31, v36
	s_and_saveexec_b64 s[6:7], s[2:3]
	s_cbranch_execz .LBB63_86
; %bb.85:                               ;   in Loop: Header=BB63_80 Depth=1
	s_waitcnt vmcnt(0)
	v_lshlrev_b64 v[12:13], 3, v[36:37]
	v_mov_b32_e32 v38, s36
	v_add_co_u32_e64 v12, s[4:5], s33, v12
	v_addc_co_u32_e64 v13, s[4:5], v38, v13, s[4:5]
	global_load_dwordx2 v[12:13], v[12:13], off
.LBB63_86:                              ;   in Loop: Header=BB63_80 Depth=1
	s_or_b64 exec, exec, s[6:7]
	v_add_u32_e32 v38, s53, v0
	;; [unrolled: 15-line block ×8, first 2 shown]
	v_add_u32_e32 v53, s50, v51
	v_cmp_gt_i32_e64 s[16:17], s52, v53
	v_ashrrev_i32_e32 v51, 31, v50
	s_and_saveexec_b64 s[20:21], s[16:17]
	s_cbranch_execz .LBB63_100
; %bb.99:                               ;   in Loop: Header=BB63_80 Depth=1
	s_waitcnt vmcnt(0)
	v_lshlrev_b64 v[30:31], 3, v[50:51]
	v_mov_b32_e32 v52, s36
	v_add_co_u32_e64 v30, s[18:19], s33, v30
	v_addc_co_u32_e64 v31, s[18:19], v52, v31, s[18:19]
	global_load_dwordx2 v[30:31], v[30:31], off
.LBB63_100:                             ;   in Loop: Header=BB63_80 Depth=1
	s_or_b64 exec, exec, s[20:21]
	v_add_u32_e32 v52, s58, v0
	v_add_u32_e32 v55, s50, v53
	v_cmp_gt_i32_e64 s[18:19], s52, v55
	v_ashrrev_i32_e32 v53, 31, v52
	s_and_saveexec_b64 s[22:23], s[18:19]
	s_cbranch_execz .LBB63_102
; %bb.101:                              ;   in Loop: Header=BB63_80 Depth=1
	s_waitcnt vmcnt(0)
	v_lshlrev_b64 v[28:29], 3, v[52:53]
	v_mov_b32_e32 v54, s36
	v_add_co_u32_e64 v28, s[20:21], s33, v28
	v_addc_co_u32_e64 v29, s[20:21], v54, v29, s[20:21]
	global_load_dwordx2 v[28:29], v[28:29], off
.LBB63_102:                             ;   in Loop: Header=BB63_80 Depth=1
	s_or_b64 exec, exec, s[22:23]
	v_add_u32_e32 v54, s59, v0
	v_add_u32_e32 v57, s50, v55
	v_cmp_gt_i32_e64 s[20:21], s52, v57
	v_ashrrev_i32_e32 v55, 31, v54
	s_and_saveexec_b64 s[24:25], s[20:21]
	s_cbranch_execz .LBB63_104
; %bb.103:                              ;   in Loop: Header=BB63_80 Depth=1
	s_waitcnt vmcnt(0)
	v_lshlrev_b64 v[26:27], 3, v[54:55]
	v_mov_b32_e32 v56, s36
	v_add_co_u32_e64 v26, s[22:23], s33, v26
	v_addc_co_u32_e64 v27, s[22:23], v56, v27, s[22:23]
	global_load_dwordx2 v[26:27], v[26:27], off
.LBB63_104:                             ;   in Loop: Header=BB63_80 Depth=1
	s_or_b64 exec, exec, s[24:25]
	v_add_u32_e32 v56, s60, v0
	v_add_u32_e32 v59, s50, v57
	v_cmp_gt_i32_e64 s[22:23], s52, v59
	v_ashrrev_i32_e32 v57, 31, v56
	s_and_saveexec_b64 s[26:27], s[22:23]
	s_cbranch_execz .LBB63_106
; %bb.105:                              ;   in Loop: Header=BB63_80 Depth=1
	s_waitcnt vmcnt(0)
	v_lshlrev_b64 v[24:25], 3, v[56:57]
	v_mov_b32_e32 v58, s36
	v_add_co_u32_e64 v24, s[24:25], s33, v24
	v_addc_co_u32_e64 v25, s[24:25], v58, v25, s[24:25]
	global_load_dwordx2 v[24:25], v[24:25], off
.LBB63_106:                             ;   in Loop: Header=BB63_80 Depth=1
	s_or_b64 exec, exec, s[26:27]
	v_add_u32_e32 v58, s61, v0
	v_add_u32_e32 v61, s50, v59
	v_cmp_gt_i32_e64 s[24:25], s52, v61
	v_ashrrev_i32_e32 v59, 31, v58
	s_and_saveexec_b64 s[28:29], s[24:25]
	s_cbranch_execz .LBB63_108
; %bb.107:                              ;   in Loop: Header=BB63_80 Depth=1
	s_waitcnt vmcnt(0)
	v_lshlrev_b64 v[22:23], 3, v[58:59]
	v_mov_b32_e32 v60, s36
	v_add_co_u32_e64 v22, s[26:27], s33, v22
	v_addc_co_u32_e64 v23, s[26:27], v60, v23, s[26:27]
	global_load_dwordx2 v[22:23], v[22:23], off
.LBB63_108:                             ;   in Loop: Header=BB63_80 Depth=1
	s_or_b64 exec, exec, s[28:29]
	v_add_u32_e32 v60, s62, v0
	v_add_u32_e32 v63, s50, v61
	v_cmp_gt_i32_e64 s[26:27], s52, v63
	v_ashrrev_i32_e32 v61, 31, v60
	s_and_saveexec_b64 s[30:31], s[26:27]
	s_cbranch_execz .LBB63_110
; %bb.109:                              ;   in Loop: Header=BB63_80 Depth=1
	s_waitcnt vmcnt(0)
	v_lshlrev_b64 v[20:21], 3, v[60:61]
	v_mov_b32_e32 v62, s36
	v_add_co_u32_e64 v20, s[28:29], s33, v20
	v_addc_co_u32_e64 v21, s[28:29], v62, v21, s[28:29]
	global_load_dwordx2 v[20:21], v[20:21], off
.LBB63_110:                             ;   in Loop: Header=BB63_80 Depth=1
	s_or_b64 exec, exec, s[30:31]
	v_add_u32_e32 v62, s63, v0
	v_add_u32_e32 v63, s50, v63
	v_cmp_gt_i32_e64 s[28:29], s52, v63
	v_ashrrev_i32_e32 v63, 31, v62
	s_and_saveexec_b64 s[34:35], s[28:29]
	s_cbranch_execnz .LBB63_127
; %bb.111:                              ;   in Loop: Header=BB63_80 Depth=1
	s_or_b64 exec, exec, s[34:35]
	s_and_saveexec_b64 s[30:31], vcc
	s_cbranch_execnz .LBB63_128
.LBB63_112:                             ;   in Loop: Header=BB63_80 Depth=1
	s_or_b64 exec, exec, s[30:31]
	s_and_saveexec_b64 s[30:31], s[0:1]
	s_cbranch_execnz .LBB63_129
.LBB63_113:                             ;   in Loop: Header=BB63_80 Depth=1
	s_or_b64 exec, exec, s[30:31]
	s_and_saveexec_b64 s[0:1], s[2:3]
	s_cbranch_execnz .LBB63_130
.LBB63_114:                             ;   in Loop: Header=BB63_80 Depth=1
	s_or_b64 exec, exec, s[0:1]
	s_and_saveexec_b64 s[0:1], s[4:5]
	s_cbranch_execnz .LBB63_131
.LBB63_115:                             ;   in Loop: Header=BB63_80 Depth=1
	s_or_b64 exec, exec, s[0:1]
	s_and_saveexec_b64 s[0:1], s[6:7]
	s_cbranch_execnz .LBB63_132
.LBB63_116:                             ;   in Loop: Header=BB63_80 Depth=1
	s_or_b64 exec, exec, s[0:1]
	s_and_saveexec_b64 s[0:1], s[8:9]
	s_cbranch_execnz .LBB63_133
.LBB63_117:                             ;   in Loop: Header=BB63_80 Depth=1
	s_or_b64 exec, exec, s[0:1]
	s_and_saveexec_b64 s[0:1], s[10:11]
	s_cbranch_execnz .LBB63_134
.LBB63_118:                             ;   in Loop: Header=BB63_80 Depth=1
	s_or_b64 exec, exec, s[0:1]
	s_and_saveexec_b64 s[0:1], s[12:13]
	s_cbranch_execnz .LBB63_135
.LBB63_119:                             ;   in Loop: Header=BB63_80 Depth=1
	s_or_b64 exec, exec, s[0:1]
	s_and_saveexec_b64 s[0:1], s[14:15]
	s_cbranch_execnz .LBB63_136
.LBB63_120:                             ;   in Loop: Header=BB63_80 Depth=1
	s_or_b64 exec, exec, s[0:1]
	s_and_saveexec_b64 s[0:1], s[16:17]
	s_cbranch_execnz .LBB63_137
.LBB63_121:                             ;   in Loop: Header=BB63_80 Depth=1
	s_or_b64 exec, exec, s[0:1]
	s_and_saveexec_b64 s[0:1], s[18:19]
	s_cbranch_execnz .LBB63_138
.LBB63_122:                             ;   in Loop: Header=BB63_80 Depth=1
	s_or_b64 exec, exec, s[0:1]
	s_and_saveexec_b64 s[0:1], s[20:21]
	s_cbranch_execnz .LBB63_139
.LBB63_123:                             ;   in Loop: Header=BB63_80 Depth=1
	s_or_b64 exec, exec, s[0:1]
	s_and_saveexec_b64 s[0:1], s[22:23]
	s_cbranch_execnz .LBB63_140
.LBB63_124:                             ;   in Loop: Header=BB63_80 Depth=1
	s_or_b64 exec, exec, s[0:1]
	s_and_saveexec_b64 s[0:1], s[24:25]
	s_cbranch_execnz .LBB63_141
.LBB63_125:                             ;   in Loop: Header=BB63_80 Depth=1
	s_or_b64 exec, exec, s[0:1]
	s_and_saveexec_b64 s[0:1], s[26:27]
	s_cbranch_execnz .LBB63_142
.LBB63_126:                             ;   in Loop: Header=BB63_80 Depth=1
	s_or_b64 exec, exec, s[0:1]
	s_and_saveexec_b64 s[0:1], s[28:29]
	s_cbranch_execz .LBB63_79
	s_branch .LBB63_143
.LBB63_127:                             ;   in Loop: Header=BB63_80 Depth=1
	s_waitcnt vmcnt(0)
	v_lshlrev_b64 v[18:19], 3, v[62:63]
	v_mov_b32_e32 v64, s36
	v_add_co_u32_e64 v18, s[30:31], s33, v18
	v_addc_co_u32_e64 v19, s[30:31], v64, v19, s[30:31]
	global_load_dwordx2 v[18:19], v[18:19], off
	s_or_b64 exec, exec, s[34:35]
	s_and_saveexec_b64 s[30:31], vcc
	s_cbranch_execz .LBB63_112
.LBB63_128:                             ;   in Loop: Header=BB63_80 Depth=1
	v_lshlrev_b64 v[64:65], 3, v[0:1]
	v_mov_b32_e32 v1, s38
	v_add_co_u32_e32 v64, vcc, s37, v64
	v_addc_co_u32_e32 v65, vcc, v1, v65, vcc
	s_waitcnt vmcnt(0)
	global_store_dwordx2 v[64:65], v[16:17], off
	s_or_b64 exec, exec, s[30:31]
	s_and_saveexec_b64 s[30:31], s[0:1]
	s_cbranch_execz .LBB63_113
.LBB63_129:                             ;   in Loop: Header=BB63_80 Depth=1
	v_lshlrev_b64 v[34:35], 3, v[34:35]
	v_mov_b32_e32 v1, s38
	v_add_co_u32_e32 v34, vcc, s37, v34
	v_addc_co_u32_e32 v35, vcc, v1, v35, vcc
	s_waitcnt vmcnt(0)
	global_store_dwordx2 v[34:35], v[14:15], off
	s_or_b64 exec, exec, s[30:31]
	s_and_saveexec_b64 s[0:1], s[2:3]
	s_cbranch_execz .LBB63_114
.LBB63_130:                             ;   in Loop: Header=BB63_80 Depth=1
	v_lshlrev_b64 v[34:35], 3, v[36:37]
	v_mov_b32_e32 v1, s38
	v_add_co_u32_e32 v34, vcc, s37, v34
	v_addc_co_u32_e32 v35, vcc, v1, v35, vcc
	s_waitcnt vmcnt(0)
	global_store_dwordx2 v[34:35], v[12:13], off
	s_or_b64 exec, exec, s[0:1]
	s_and_saveexec_b64 s[0:1], s[4:5]
	s_cbranch_execz .LBB63_115
.LBB63_131:                             ;   in Loop: Header=BB63_80 Depth=1
	v_lshlrev_b64 v[34:35], 3, v[38:39]
	v_mov_b32_e32 v1, s38
	v_add_co_u32_e32 v34, vcc, s37, v34
	v_addc_co_u32_e32 v35, vcc, v1, v35, vcc
	s_waitcnt vmcnt(0)
	global_store_dwordx2 v[34:35], v[10:11], off
	s_or_b64 exec, exec, s[0:1]
	s_and_saveexec_b64 s[0:1], s[6:7]
	s_cbranch_execz .LBB63_116
.LBB63_132:                             ;   in Loop: Header=BB63_80 Depth=1
	v_lshlrev_b64 v[34:35], 3, v[40:41]
	v_mov_b32_e32 v1, s38
	v_add_co_u32_e32 v34, vcc, s37, v34
	v_addc_co_u32_e32 v35, vcc, v1, v35, vcc
	s_waitcnt vmcnt(0)
	global_store_dwordx2 v[34:35], v[8:9], off
	s_or_b64 exec, exec, s[0:1]
	s_and_saveexec_b64 s[0:1], s[8:9]
	s_cbranch_execz .LBB63_117
.LBB63_133:                             ;   in Loop: Header=BB63_80 Depth=1
	v_lshlrev_b64 v[34:35], 3, v[42:43]
	v_mov_b32_e32 v1, s38
	v_add_co_u32_e32 v34, vcc, s37, v34
	v_addc_co_u32_e32 v35, vcc, v1, v35, vcc
	s_waitcnt vmcnt(0)
	global_store_dwordx2 v[34:35], v[6:7], off
	s_or_b64 exec, exec, s[0:1]
	s_and_saveexec_b64 s[0:1], s[10:11]
	s_cbranch_execz .LBB63_118
.LBB63_134:                             ;   in Loop: Header=BB63_80 Depth=1
	v_lshlrev_b64 v[34:35], 3, v[44:45]
	v_mov_b32_e32 v1, s38
	v_add_co_u32_e32 v34, vcc, s37, v34
	v_addc_co_u32_e32 v35, vcc, v1, v35, vcc
	s_waitcnt vmcnt(0)
	global_store_dwordx2 v[34:35], v[4:5], off
	s_or_b64 exec, exec, s[0:1]
	s_and_saveexec_b64 s[0:1], s[12:13]
	s_cbranch_execz .LBB63_119
.LBB63_135:                             ;   in Loop: Header=BB63_80 Depth=1
	v_lshlrev_b64 v[34:35], 3, v[46:47]
	v_mov_b32_e32 v1, s38
	v_add_co_u32_e32 v34, vcc, s37, v34
	v_addc_co_u32_e32 v35, vcc, v1, v35, vcc
	s_waitcnt vmcnt(0)
	global_store_dwordx2 v[34:35], v[2:3], off
	s_or_b64 exec, exec, s[0:1]
	s_and_saveexec_b64 s[0:1], s[14:15]
	s_cbranch_execz .LBB63_120
.LBB63_136:                             ;   in Loop: Header=BB63_80 Depth=1
	v_lshlrev_b64 v[34:35], 3, v[48:49]
	v_mov_b32_e32 v1, s38
	v_add_co_u32_e32 v34, vcc, s37, v34
	v_addc_co_u32_e32 v35, vcc, v1, v35, vcc
	s_waitcnt vmcnt(0)
	global_store_dwordx2 v[34:35], v[32:33], off
	s_or_b64 exec, exec, s[0:1]
	s_and_saveexec_b64 s[0:1], s[16:17]
	s_cbranch_execz .LBB63_121
.LBB63_137:                             ;   in Loop: Header=BB63_80 Depth=1
	v_lshlrev_b64 v[34:35], 3, v[50:51]
	v_mov_b32_e32 v1, s38
	v_add_co_u32_e32 v34, vcc, s37, v34
	v_addc_co_u32_e32 v35, vcc, v1, v35, vcc
	s_waitcnt vmcnt(0)
	global_store_dwordx2 v[34:35], v[30:31], off
	s_or_b64 exec, exec, s[0:1]
	s_and_saveexec_b64 s[0:1], s[18:19]
	s_cbranch_execz .LBB63_122
.LBB63_138:                             ;   in Loop: Header=BB63_80 Depth=1
	v_lshlrev_b64 v[34:35], 3, v[52:53]
	v_mov_b32_e32 v1, s38
	v_add_co_u32_e32 v34, vcc, s37, v34
	v_addc_co_u32_e32 v35, vcc, v1, v35, vcc
	s_waitcnt vmcnt(0)
	global_store_dwordx2 v[34:35], v[28:29], off
	s_or_b64 exec, exec, s[0:1]
	s_and_saveexec_b64 s[0:1], s[20:21]
	s_cbranch_execz .LBB63_123
.LBB63_139:                             ;   in Loop: Header=BB63_80 Depth=1
	v_lshlrev_b64 v[34:35], 3, v[54:55]
	v_mov_b32_e32 v1, s38
	v_add_co_u32_e32 v34, vcc, s37, v34
	v_addc_co_u32_e32 v35, vcc, v1, v35, vcc
	s_waitcnt vmcnt(0)
	global_store_dwordx2 v[34:35], v[26:27], off
	s_or_b64 exec, exec, s[0:1]
	s_and_saveexec_b64 s[0:1], s[22:23]
	s_cbranch_execz .LBB63_124
.LBB63_140:                             ;   in Loop: Header=BB63_80 Depth=1
	v_lshlrev_b64 v[34:35], 3, v[56:57]
	v_mov_b32_e32 v1, s38
	v_add_co_u32_e32 v34, vcc, s37, v34
	v_addc_co_u32_e32 v35, vcc, v1, v35, vcc
	s_waitcnt vmcnt(0)
	global_store_dwordx2 v[34:35], v[24:25], off
	s_or_b64 exec, exec, s[0:1]
	s_and_saveexec_b64 s[0:1], s[24:25]
	s_cbranch_execz .LBB63_125
.LBB63_141:                             ;   in Loop: Header=BB63_80 Depth=1
	v_lshlrev_b64 v[34:35], 3, v[58:59]
	v_mov_b32_e32 v1, s38
	v_add_co_u32_e32 v34, vcc, s37, v34
	v_addc_co_u32_e32 v35, vcc, v1, v35, vcc
	s_waitcnt vmcnt(0)
	global_store_dwordx2 v[34:35], v[22:23], off
	s_or_b64 exec, exec, s[0:1]
	s_and_saveexec_b64 s[0:1], s[26:27]
	s_cbranch_execz .LBB63_126
.LBB63_142:                             ;   in Loop: Header=BB63_80 Depth=1
	v_lshlrev_b64 v[34:35], 3, v[60:61]
	v_mov_b32_e32 v1, s38
	v_add_co_u32_e32 v34, vcc, s37, v34
	v_addc_co_u32_e32 v35, vcc, v1, v35, vcc
	s_waitcnt vmcnt(0)
	global_store_dwordx2 v[34:35], v[20:21], off
	s_or_b64 exec, exec, s[0:1]
	s_and_saveexec_b64 s[0:1], s[28:29]
	s_cbranch_execz .LBB63_79
.LBB63_143:                             ;   in Loop: Header=BB63_80 Depth=1
	v_lshlrev_b64 v[34:35], 3, v[62:63]
	v_mov_b32_e32 v1, s38
	v_add_co_u32_e32 v34, vcc, s37, v34
	v_addc_co_u32_e32 v35, vcc, v1, v35, vcc
	s_waitcnt vmcnt(0)
	global_store_dwordx2 v[34:35], v[18:19], off
	s_branch .LBB63_79
.LBB63_144:
	s_endpgm
	.section	.rodata,"a",@progbits
	.p2align	6, 0x0
	.amdhsa_kernel _ZN9rocsolver6v33100L10stedc_sortI19rocblas_complex_numIfEfPS3_S4_EEviPT0_lS6_lT1_iilT2_iil
		.amdhsa_group_segment_fixed_size 2048
		.amdhsa_private_segment_fixed_size 0
		.amdhsa_kernarg_size 344
		.amdhsa_user_sgpr_count 6
		.amdhsa_user_sgpr_private_segment_buffer 1
		.amdhsa_user_sgpr_dispatch_ptr 0
		.amdhsa_user_sgpr_queue_ptr 0
		.amdhsa_user_sgpr_kernarg_segment_ptr 1
		.amdhsa_user_sgpr_dispatch_id 0
		.amdhsa_user_sgpr_flat_scratch_init 0
		.amdhsa_user_sgpr_private_segment_size 0
		.amdhsa_uses_dynamic_stack 0
		.amdhsa_system_sgpr_private_segment_wavefront_offset 0
		.amdhsa_system_sgpr_workgroup_id_x 1
		.amdhsa_system_sgpr_workgroup_id_y 1
		.amdhsa_system_sgpr_workgroup_id_z 0
		.amdhsa_system_sgpr_workgroup_info 0
		.amdhsa_system_vgpr_workitem_id 0
		.amdhsa_next_free_vgpr 66
		.amdhsa_next_free_sgpr 72
		.amdhsa_reserve_vcc 1
		.amdhsa_reserve_flat_scratch 0
		.amdhsa_float_round_mode_32 0
		.amdhsa_float_round_mode_16_64 0
		.amdhsa_float_denorm_mode_32 3
		.amdhsa_float_denorm_mode_16_64 3
		.amdhsa_dx10_clamp 1
		.amdhsa_ieee_mode 1
		.amdhsa_fp16_overflow 0
		.amdhsa_exception_fp_ieee_invalid_op 0
		.amdhsa_exception_fp_denorm_src 0
		.amdhsa_exception_fp_ieee_div_zero 0
		.amdhsa_exception_fp_ieee_overflow 0
		.amdhsa_exception_fp_ieee_underflow 0
		.amdhsa_exception_fp_ieee_inexact 0
		.amdhsa_exception_int_div_zero 0
	.end_amdhsa_kernel
	.section	.text._ZN9rocsolver6v33100L10stedc_sortI19rocblas_complex_numIfEfPS3_S4_EEviPT0_lS6_lT1_iilT2_iil,"axG",@progbits,_ZN9rocsolver6v33100L10stedc_sortI19rocblas_complex_numIfEfPS3_S4_EEviPT0_lS6_lT1_iilT2_iil,comdat
.Lfunc_end63:
	.size	_ZN9rocsolver6v33100L10stedc_sortI19rocblas_complex_numIfEfPS3_S4_EEviPT0_lS6_lT1_iilT2_iil, .Lfunc_end63-_ZN9rocsolver6v33100L10stedc_sortI19rocblas_complex_numIfEfPS3_S4_EEviPT0_lS6_lT1_iilT2_iil
                                        ; -- End function
	.set _ZN9rocsolver6v33100L10stedc_sortI19rocblas_complex_numIfEfPS3_S4_EEviPT0_lS6_lT1_iilT2_iil.num_vgpr, 66
	.set _ZN9rocsolver6v33100L10stedc_sortI19rocblas_complex_numIfEfPS3_S4_EEviPT0_lS6_lT1_iilT2_iil.num_agpr, 0
	.set _ZN9rocsolver6v33100L10stedc_sortI19rocblas_complex_numIfEfPS3_S4_EEviPT0_lS6_lT1_iilT2_iil.numbered_sgpr, 72
	.set _ZN9rocsolver6v33100L10stedc_sortI19rocblas_complex_numIfEfPS3_S4_EEviPT0_lS6_lT1_iilT2_iil.num_named_barrier, 0
	.set _ZN9rocsolver6v33100L10stedc_sortI19rocblas_complex_numIfEfPS3_S4_EEviPT0_lS6_lT1_iilT2_iil.private_seg_size, 0
	.set _ZN9rocsolver6v33100L10stedc_sortI19rocblas_complex_numIfEfPS3_S4_EEviPT0_lS6_lT1_iilT2_iil.uses_vcc, 1
	.set _ZN9rocsolver6v33100L10stedc_sortI19rocblas_complex_numIfEfPS3_S4_EEviPT0_lS6_lT1_iilT2_iil.uses_flat_scratch, 0
	.set _ZN9rocsolver6v33100L10stedc_sortI19rocblas_complex_numIfEfPS3_S4_EEviPT0_lS6_lT1_iilT2_iil.has_dyn_sized_stack, 0
	.set _ZN9rocsolver6v33100L10stedc_sortI19rocblas_complex_numIfEfPS3_S4_EEviPT0_lS6_lT1_iilT2_iil.has_recursion, 0
	.set _ZN9rocsolver6v33100L10stedc_sortI19rocblas_complex_numIfEfPS3_S4_EEviPT0_lS6_lT1_iilT2_iil.has_indirect_call, 0
	.section	.AMDGPU.csdata,"",@progbits
; Kernel info:
; codeLenInByte = 5280
; TotalNumSgprs: 76
; NumVgprs: 66
; ScratchSize: 0
; MemoryBound: 0
; FloatMode: 240
; IeeeMode: 1
; LDSByteSize: 2048 bytes/workgroup (compile time only)
; SGPRBlocks: 9
; VGPRBlocks: 16
; NumSGPRsForWavesPerEU: 76
; NumVGPRsForWavesPerEU: 66
; Occupancy: 3
; WaveLimiterHint : 0
; COMPUTE_PGM_RSRC2:SCRATCH_EN: 0
; COMPUTE_PGM_RSRC2:USER_SGPR: 6
; COMPUTE_PGM_RSRC2:TRAP_HANDLER: 0
; COMPUTE_PGM_RSRC2:TGID_X_EN: 1
; COMPUTE_PGM_RSRC2:TGID_Y_EN: 1
; COMPUTE_PGM_RSRC2:TGID_Z_EN: 0
; COMPUTE_PGM_RSRC2:TIDIG_COMP_CNT: 0
	.section	.text._ZN9rocsolver6v33100L16reset_batch_infoI19rocblas_complex_numIdEiiPS3_EEvT2_lT0_T1_,"axG",@progbits,_ZN9rocsolver6v33100L16reset_batch_infoI19rocblas_complex_numIdEiiPS3_EEvT2_lT0_T1_,comdat
	.globl	_ZN9rocsolver6v33100L16reset_batch_infoI19rocblas_complex_numIdEiiPS3_EEvT2_lT0_T1_ ; -- Begin function _ZN9rocsolver6v33100L16reset_batch_infoI19rocblas_complex_numIdEiiPS3_EEvT2_lT0_T1_
	.p2align	8
	.type	_ZN9rocsolver6v33100L16reset_batch_infoI19rocblas_complex_numIdEiiPS3_EEvT2_lT0_T1_,@function
_ZN9rocsolver6v33100L16reset_batch_infoI19rocblas_complex_numIdEiiPS3_EEvT2_lT0_T1_: ; @_ZN9rocsolver6v33100L16reset_batch_infoI19rocblas_complex_numIdEiiPS3_EEvT2_lT0_T1_
; %bb.0:
	s_load_dword s2, s[4:5], 0x24
	s_load_dwordx2 s[0:1], s[4:5], 0x10
	s_waitcnt lgkmcnt(0)
	s_and_b32 s2, s2, 0xffff
	s_mul_i32 s6, s6, s2
	v_add_u32_e32 v0, s6, v0
	v_cmp_gt_i32_e32 vcc, s0, v0
	s_and_saveexec_b64 s[2:3], vcc
	s_cbranch_execz .LBB64_2
; %bb.1:
	s_load_dwordx4 s[8:11], s[4:5], 0x0
	s_ashr_i32 s0, s7, 31
	v_ashrrev_i32_e32 v1, 31, v0
	v_lshlrev_b64 v[2:3], 4, v[0:1]
	v_cvt_f64_i32_e32 v[0:1], s1
	s_waitcnt lgkmcnt(0)
	s_mul_hi_u32 s3, s10, s7
	s_mul_i32 s0, s10, s0
	s_mul_i32 s4, s11, s7
	s_add_i32 s0, s3, s0
	s_mul_i32 s2, s10, s7
	s_add_i32 s3, s0, s4
	s_lshl_b64 s[2:3], s[2:3], 4
	s_add_u32 s0, s8, s2
	s_addc_u32 s2, s9, s3
	v_mov_b32_e32 v5, s2
	v_add_co_u32_e32 v4, vcc, s0, v2
	v_mov_b32_e32 v2, 0
	v_addc_co_u32_e32 v5, vcc, v5, v3, vcc
	v_mov_b32_e32 v3, v2
	global_store_dwordx4 v[4:5], v[0:3], off
.LBB64_2:
	s_endpgm
	.section	.rodata,"a",@progbits
	.p2align	6, 0x0
	.amdhsa_kernel _ZN9rocsolver6v33100L16reset_batch_infoI19rocblas_complex_numIdEiiPS3_EEvT2_lT0_T1_
		.amdhsa_group_segment_fixed_size 0
		.amdhsa_private_segment_fixed_size 0
		.amdhsa_kernarg_size 280
		.amdhsa_user_sgpr_count 6
		.amdhsa_user_sgpr_private_segment_buffer 1
		.amdhsa_user_sgpr_dispatch_ptr 0
		.amdhsa_user_sgpr_queue_ptr 0
		.amdhsa_user_sgpr_kernarg_segment_ptr 1
		.amdhsa_user_sgpr_dispatch_id 0
		.amdhsa_user_sgpr_flat_scratch_init 0
		.amdhsa_user_sgpr_private_segment_size 0
		.amdhsa_uses_dynamic_stack 0
		.amdhsa_system_sgpr_private_segment_wavefront_offset 0
		.amdhsa_system_sgpr_workgroup_id_x 1
		.amdhsa_system_sgpr_workgroup_id_y 1
		.amdhsa_system_sgpr_workgroup_id_z 0
		.amdhsa_system_sgpr_workgroup_info 0
		.amdhsa_system_vgpr_workitem_id 0
		.amdhsa_next_free_vgpr 6
		.amdhsa_next_free_sgpr 12
		.amdhsa_reserve_vcc 1
		.amdhsa_reserve_flat_scratch 0
		.amdhsa_float_round_mode_32 0
		.amdhsa_float_round_mode_16_64 0
		.amdhsa_float_denorm_mode_32 3
		.amdhsa_float_denorm_mode_16_64 3
		.amdhsa_dx10_clamp 1
		.amdhsa_ieee_mode 1
		.amdhsa_fp16_overflow 0
		.amdhsa_exception_fp_ieee_invalid_op 0
		.amdhsa_exception_fp_denorm_src 0
		.amdhsa_exception_fp_ieee_div_zero 0
		.amdhsa_exception_fp_ieee_overflow 0
		.amdhsa_exception_fp_ieee_underflow 0
		.amdhsa_exception_fp_ieee_inexact 0
		.amdhsa_exception_int_div_zero 0
	.end_amdhsa_kernel
	.section	.text._ZN9rocsolver6v33100L16reset_batch_infoI19rocblas_complex_numIdEiiPS3_EEvT2_lT0_T1_,"axG",@progbits,_ZN9rocsolver6v33100L16reset_batch_infoI19rocblas_complex_numIdEiiPS3_EEvT2_lT0_T1_,comdat
.Lfunc_end64:
	.size	_ZN9rocsolver6v33100L16reset_batch_infoI19rocblas_complex_numIdEiiPS3_EEvT2_lT0_T1_, .Lfunc_end64-_ZN9rocsolver6v33100L16reset_batch_infoI19rocblas_complex_numIdEiiPS3_EEvT2_lT0_T1_
                                        ; -- End function
	.set _ZN9rocsolver6v33100L16reset_batch_infoI19rocblas_complex_numIdEiiPS3_EEvT2_lT0_T1_.num_vgpr, 6
	.set _ZN9rocsolver6v33100L16reset_batch_infoI19rocblas_complex_numIdEiiPS3_EEvT2_lT0_T1_.num_agpr, 0
	.set _ZN9rocsolver6v33100L16reset_batch_infoI19rocblas_complex_numIdEiiPS3_EEvT2_lT0_T1_.numbered_sgpr, 12
	.set _ZN9rocsolver6v33100L16reset_batch_infoI19rocblas_complex_numIdEiiPS3_EEvT2_lT0_T1_.num_named_barrier, 0
	.set _ZN9rocsolver6v33100L16reset_batch_infoI19rocblas_complex_numIdEiiPS3_EEvT2_lT0_T1_.private_seg_size, 0
	.set _ZN9rocsolver6v33100L16reset_batch_infoI19rocblas_complex_numIdEiiPS3_EEvT2_lT0_T1_.uses_vcc, 1
	.set _ZN9rocsolver6v33100L16reset_batch_infoI19rocblas_complex_numIdEiiPS3_EEvT2_lT0_T1_.uses_flat_scratch, 0
	.set _ZN9rocsolver6v33100L16reset_batch_infoI19rocblas_complex_numIdEiiPS3_EEvT2_lT0_T1_.has_dyn_sized_stack, 0
	.set _ZN9rocsolver6v33100L16reset_batch_infoI19rocblas_complex_numIdEiiPS3_EEvT2_lT0_T1_.has_recursion, 0
	.set _ZN9rocsolver6v33100L16reset_batch_infoI19rocblas_complex_numIdEiiPS3_EEvT2_lT0_T1_.has_indirect_call, 0
	.section	.AMDGPU.csdata,"",@progbits
; Kernel info:
; codeLenInByte = 148
; TotalNumSgprs: 16
; NumVgprs: 6
; ScratchSize: 0
; MemoryBound: 0
; FloatMode: 240
; IeeeMode: 1
; LDSByteSize: 0 bytes/workgroup (compile time only)
; SGPRBlocks: 1
; VGPRBlocks: 1
; NumSGPRsForWavesPerEU: 16
; NumVGPRsForWavesPerEU: 6
; Occupancy: 10
; WaveLimiterHint : 0
; COMPUTE_PGM_RSRC2:SCRATCH_EN: 0
; COMPUTE_PGM_RSRC2:USER_SGPR: 6
; COMPUTE_PGM_RSRC2:TRAP_HANDLER: 0
; COMPUTE_PGM_RSRC2:TGID_X_EN: 1
; COMPUTE_PGM_RSRC2:TGID_Y_EN: 1
; COMPUTE_PGM_RSRC2:TGID_Z_EN: 0
; COMPUTE_PGM_RSRC2:TIDIG_COMP_CNT: 0
	.section	.text._ZN9rocsolver6v33100L10init_identI19rocblas_complex_numIdEPS3_EEviiT0_iil,"axG",@progbits,_ZN9rocsolver6v33100L10init_identI19rocblas_complex_numIdEPS3_EEviiT0_iil,comdat
	.globl	_ZN9rocsolver6v33100L10init_identI19rocblas_complex_numIdEPS3_EEviiT0_iil ; -- Begin function _ZN9rocsolver6v33100L10init_identI19rocblas_complex_numIdEPS3_EEviiT0_iil
	.p2align	8
	.type	_ZN9rocsolver6v33100L10init_identI19rocblas_complex_numIdEPS3_EEviiT0_iil,@function
_ZN9rocsolver6v33100L10init_identI19rocblas_complex_numIdEPS3_EEviiT0_iil: ; @_ZN9rocsolver6v33100L10init_identI19rocblas_complex_numIdEPS3_EEviiT0_iil
; %bb.0:
	s_load_dword s2, s[4:5], 0x2c
	s_load_dwordx2 s[0:1], s[4:5], 0x0
	s_waitcnt lgkmcnt(0)
	s_lshr_b32 s3, s2, 16
	s_and_b32 s2, s2, 0xffff
	s_mul_i32 s6, s6, s2
	s_mul_i32 s7, s7, s3
	v_add_u32_e32 v3, s6, v0
	v_add_u32_e32 v0, s7, v1
	v_cmp_gt_u32_e32 vcc, s0, v3
	v_cmp_gt_u32_e64 s[0:1], s1, v0
	s_and_b64 s[0:1], vcc, s[0:1]
	s_and_saveexec_b64 s[2:3], s[0:1]
	s_cbranch_execz .LBB65_6
; %bb.1:
	s_load_dwordx2 s[0:1], s[4:5], 0x10
	v_cmp_ne_u32_e32 vcc, v3, v0
                                        ; implicit-def: $vgpr2
	s_and_saveexec_b64 s[2:3], vcc
	s_xor_b64 s[2:3], exec, s[2:3]
	s_cbranch_execz .LBB65_3
; %bb.2:
	s_waitcnt lgkmcnt(0)
	v_mad_u64_u32 v[2:3], s[6:7], v0, s1, v[3:4]
                                        ; implicit-def: $vgpr3
.LBB65_3:
	s_or_saveexec_b64 s[2:3], s[2:3]
	v_mov_b32_e32 v0, 0
	v_mov_b32_e32 v1, 0
	s_xor_b64 exec, exec, s[2:3]
	s_cbranch_execz .LBB65_5
; %bb.4:
	s_waitcnt lgkmcnt(0)
	v_mad_u64_u32 v[2:3], s[6:7], v3, s1, v[3:4]
	v_mov_b32_e32 v0, 0
	v_mov_b32_e32 v1, 0x3ff00000
.LBB65_5:
	s_or_b64 exec, exec, s[2:3]
	s_load_dwordx2 s[2:3], s[4:5], 0x18
	s_load_dwordx2 s[6:7], s[4:5], 0x8
	s_waitcnt lgkmcnt(0)
	s_ashr_i32 s1, s0, 31
	v_mov_b32_e32 v3, 0
	v_lshlrev_b64 v[4:5], 4, v[2:3]
	s_mul_i32 s3, s3, s8
	s_mul_hi_u32 s4, s2, s8
	s_mul_i32 s2, s2, s8
	s_add_i32 s3, s4, s3
	s_lshl_b64 s[2:3], s[2:3], 4
	s_add_u32 s2, s6, s2
	s_addc_u32 s3, s7, s3
	s_lshl_b64 s[0:1], s[0:1], 4
	s_add_u32 s0, s2, s0
	s_addc_u32 s1, s3, s1
	v_mov_b32_e32 v2, s1
	v_add_co_u32_e32 v4, vcc, s0, v4
	v_addc_co_u32_e32 v5, vcc, v2, v5, vcc
	v_mov_b32_e32 v2, v3
	global_store_dwordx4 v[4:5], v[0:3], off
.LBB65_6:
	s_endpgm
	.section	.rodata,"a",@progbits
	.p2align	6, 0x0
	.amdhsa_kernel _ZN9rocsolver6v33100L10init_identI19rocblas_complex_numIdEPS3_EEviiT0_iil
		.amdhsa_group_segment_fixed_size 0
		.amdhsa_private_segment_fixed_size 0
		.amdhsa_kernarg_size 288
		.amdhsa_user_sgpr_count 6
		.amdhsa_user_sgpr_private_segment_buffer 1
		.amdhsa_user_sgpr_dispatch_ptr 0
		.amdhsa_user_sgpr_queue_ptr 0
		.amdhsa_user_sgpr_kernarg_segment_ptr 1
		.amdhsa_user_sgpr_dispatch_id 0
		.amdhsa_user_sgpr_flat_scratch_init 0
		.amdhsa_user_sgpr_private_segment_size 0
		.amdhsa_uses_dynamic_stack 0
		.amdhsa_system_sgpr_private_segment_wavefront_offset 0
		.amdhsa_system_sgpr_workgroup_id_x 1
		.amdhsa_system_sgpr_workgroup_id_y 1
		.amdhsa_system_sgpr_workgroup_id_z 1
		.amdhsa_system_sgpr_workgroup_info 0
		.amdhsa_system_vgpr_workitem_id 1
		.amdhsa_next_free_vgpr 6
		.amdhsa_next_free_sgpr 9
		.amdhsa_reserve_vcc 1
		.amdhsa_reserve_flat_scratch 0
		.amdhsa_float_round_mode_32 0
		.amdhsa_float_round_mode_16_64 0
		.amdhsa_float_denorm_mode_32 3
		.amdhsa_float_denorm_mode_16_64 3
		.amdhsa_dx10_clamp 1
		.amdhsa_ieee_mode 1
		.amdhsa_fp16_overflow 0
		.amdhsa_exception_fp_ieee_invalid_op 0
		.amdhsa_exception_fp_denorm_src 0
		.amdhsa_exception_fp_ieee_div_zero 0
		.amdhsa_exception_fp_ieee_overflow 0
		.amdhsa_exception_fp_ieee_underflow 0
		.amdhsa_exception_fp_ieee_inexact 0
		.amdhsa_exception_int_div_zero 0
	.end_amdhsa_kernel
	.section	.text._ZN9rocsolver6v33100L10init_identI19rocblas_complex_numIdEPS3_EEviiT0_iil,"axG",@progbits,_ZN9rocsolver6v33100L10init_identI19rocblas_complex_numIdEPS3_EEviiT0_iil,comdat
.Lfunc_end65:
	.size	_ZN9rocsolver6v33100L10init_identI19rocblas_complex_numIdEPS3_EEviiT0_iil, .Lfunc_end65-_ZN9rocsolver6v33100L10init_identI19rocblas_complex_numIdEPS3_EEviiT0_iil
                                        ; -- End function
	.set _ZN9rocsolver6v33100L10init_identI19rocblas_complex_numIdEPS3_EEviiT0_iil.num_vgpr, 6
	.set _ZN9rocsolver6v33100L10init_identI19rocblas_complex_numIdEPS3_EEviiT0_iil.num_agpr, 0
	.set _ZN9rocsolver6v33100L10init_identI19rocblas_complex_numIdEPS3_EEviiT0_iil.numbered_sgpr, 9
	.set _ZN9rocsolver6v33100L10init_identI19rocblas_complex_numIdEPS3_EEviiT0_iil.num_named_barrier, 0
	.set _ZN9rocsolver6v33100L10init_identI19rocblas_complex_numIdEPS3_EEviiT0_iil.private_seg_size, 0
	.set _ZN9rocsolver6v33100L10init_identI19rocblas_complex_numIdEPS3_EEviiT0_iil.uses_vcc, 1
	.set _ZN9rocsolver6v33100L10init_identI19rocblas_complex_numIdEPS3_EEviiT0_iil.uses_flat_scratch, 0
	.set _ZN9rocsolver6v33100L10init_identI19rocblas_complex_numIdEPS3_EEviiT0_iil.has_dyn_sized_stack, 0
	.set _ZN9rocsolver6v33100L10init_identI19rocblas_complex_numIdEPS3_EEviiT0_iil.has_recursion, 0
	.set _ZN9rocsolver6v33100L10init_identI19rocblas_complex_numIdEPS3_EEviiT0_iil.has_indirect_call, 0
	.section	.AMDGPU.csdata,"",@progbits
; Kernel info:
; codeLenInByte = 260
; TotalNumSgprs: 13
; NumVgprs: 6
; ScratchSize: 0
; MemoryBound: 0
; FloatMode: 240
; IeeeMode: 1
; LDSByteSize: 0 bytes/workgroup (compile time only)
; SGPRBlocks: 1
; VGPRBlocks: 1
; NumSGPRsForWavesPerEU: 13
; NumVGPRsForWavesPerEU: 6
; Occupancy: 10
; WaveLimiterHint : 0
; COMPUTE_PGM_RSRC2:SCRATCH_EN: 0
; COMPUTE_PGM_RSRC2:USER_SGPR: 6
; COMPUTE_PGM_RSRC2:TRAP_HANDLER: 0
; COMPUTE_PGM_RSRC2:TGID_X_EN: 1
; COMPUTE_PGM_RSRC2:TGID_Y_EN: 1
; COMPUTE_PGM_RSRC2:TGID_Z_EN: 1
; COMPUTE_PGM_RSRC2:TIDIG_COMP_CNT: 1
	.section	.text._ZN9rocsolver6v33100L11lasr_kernelI19rocblas_complex_numIdEdPS3_iEEv13rocblas_side_14rocblas_pivot_15rocblas_direct_T2_S8_PT0_lSA_lT1_lS8_lS8_,"axG",@progbits,_ZN9rocsolver6v33100L11lasr_kernelI19rocblas_complex_numIdEdPS3_iEEv13rocblas_side_14rocblas_pivot_15rocblas_direct_T2_S8_PT0_lSA_lT1_lS8_lS8_,comdat
	.globl	_ZN9rocsolver6v33100L11lasr_kernelI19rocblas_complex_numIdEdPS3_iEEv13rocblas_side_14rocblas_pivot_15rocblas_direct_T2_S8_PT0_lSA_lT1_lS8_lS8_ ; -- Begin function _ZN9rocsolver6v33100L11lasr_kernelI19rocblas_complex_numIdEdPS3_iEEv13rocblas_side_14rocblas_pivot_15rocblas_direct_T2_S8_PT0_lSA_lT1_lS8_lS8_
	.p2align	8
	.type	_ZN9rocsolver6v33100L11lasr_kernelI19rocblas_complex_numIdEdPS3_iEEv13rocblas_side_14rocblas_pivot_15rocblas_direct_T2_S8_PT0_lSA_lT1_lS8_lS8_,@function
_ZN9rocsolver6v33100L11lasr_kernelI19rocblas_complex_numIdEdPS3_iEEv13rocblas_side_14rocblas_pivot_15rocblas_direct_T2_S8_PT0_lSA_lT1_lS8_lS8_: ; @_ZN9rocsolver6v33100L11lasr_kernelI19rocblas_complex_numIdEdPS3_iEEv13rocblas_side_14rocblas_pivot_15rocblas_direct_T2_S8_PT0_lSA_lT1_lS8_lS8_
; %bb.0:
	s_load_dword s33, s[4:5], 0x58
	s_waitcnt lgkmcnt(0)
	s_cmp_ge_u32 s7, s33
	s_cbranch_scc1 .LBB66_108
; %bb.1:
	s_load_dword s24, s[4:5], 0x48
	s_load_dwordx2 s[26:27], s[4:5], 0x68
	s_load_dwordx4 s[20:23], s[4:5], 0x38
	s_load_dwordx4 s[16:19], s[4:5], 0x0
	s_load_dword s90, s[4:5], 0x10
	s_waitcnt lgkmcnt(0)
	s_ashr_i32 s25, s24, 31
	s_and_b32 s45, s27, 0xffff
	s_mul_i32 s6, s6, s45
	s_lshl_b64 s[2:3], s[22:23], 4
	v_add_u32_e32 v4, s6, v0
	s_add_u32 s6, s20, s2
	s_addc_u32 s27, s21, s3
	s_cmpk_eq_i32 s16, 0x8d
	s_cselect_b64 s[0:1], -1, 0
	s_cmpk_eq_i32 s16, 0x8e
	s_cselect_b64 s[8:9], -1, 0
	;; [unrolled: 2-line block ×7, first 2 shown]
	s_and_b64 s[22:23], s[0:1], s[10:11]
	s_and_b64 s[30:31], s[0:1], s[14:15]
	;; [unrolled: 1-line block ×5, first 2 shown]
	s_xor_b64 s[36:37], s[0:1], -1
	s_and_b64 s[0:1], s[8:9], s[10:11]
	s_and_b64 s[10:11], s[0:1], s[40:41]
	;; [unrolled: 1-line block ×3, first 2 shown]
	s_xor_b64 s[0:1], s[0:1], -1
                                        ; implicit-def: $vgpr56 : SGPR spill to VGPR lane
	s_xor_b64 s[38:39], s[10:11], -1
	v_writelane_b32 v56, s0, 0
	v_writelane_b32 v56, s1, 1
	s_and_b64 s[0:1], s[8:9], s[14:15]
	s_and_b64 s[10:11], s[0:1], s[40:41]
	s_xor_b64 s[10:11], s[10:11], -1
	v_writelane_b32 v56, s10, 2
	s_and_b64 s[0:1], s[0:1], s[42:43]
	v_writelane_b32 v56, s11, 3
	s_xor_b64 s[0:1], s[0:1], -1
	v_writelane_b32 v56, s0, 4
	s_and_b64 s[8:9], s[8:9], s[12:13]
	v_writelane_b32 v56, s1, 5
	s_and_b64 s[0:1], s[8:9], s[40:41]
	s_xor_b64 s[0:1], s[0:1], -1
	v_writelane_b32 v56, s0, 6
	v_writelane_b32 v56, s1, 7
	v_cmp_gt_i32_e64 s[0:1], s19, v4
	s_and_b64 s[10:11], s[42:43], s[0:1]
	s_and_b64 s[8:9], s[8:9], s[10:11]
	;; [unrolled: 1-line block ×6, first 2 shown]
	v_writelane_b32 v56, s8, 8
	s_xor_b64 s[16:17], s[16:17], -1
	s_xor_b64 s[22:23], s[22:23], -1
	;; [unrolled: 1-line block ×5, first 2 shown]
	v_writelane_b32 v56, s9, 9
	s_add_i32 s91, s90, -1
	s_add_i32 s50, s90, -2
	s_load_dwordx8 s[8:15], s[4:5], 0x18
	s_cmp_gt_i32 s90, 1
	s_cselect_b64 s[52:53], -1, 0
	s_ashr_i32 s55, s19, 31
	s_add_i32 s40, s19, -2
	s_cmp_gt_i32 s19, 1
	s_mov_b32 s51, 0
	s_cselect_b64 s[56:57], -1, 0
	s_lshl_b64 s[42:43], s[50:51], 3
	s_waitcnt lgkmcnt(0)
	s_add_u32 s18, s8, s42
	s_addc_u32 s92, s9, s43
	s_lshl_b64 s[10:11], s[10:11], 3
	s_load_dword s44, s[4:5], 0x60
	v_writelane_b32 v56, s18, 10
	s_add_u32 s93, s12, s42
	s_mul_i32 s18, s25, s50
	s_mul_hi_u32 s41, s24, s50
	s_addc_u32 s94, s13, s43
	s_add_i32 s43, s41, s18
	s_mul_i32 s42, s24, s50
	s_lshl_b64 s[42:43], s[42:43], 4
	s_lshl_b64 s[14:15], s[14:15], 3
	s_load_dwordx2 s[4:5], s[4:5], 0x50
	s_add_u32 s18, s42, s2
	s_addc_u32 s41, s43, s3
	v_ashrrev_i32_e32 v5, 31, v4
	s_add_u32 s18, s20, s18
	v_lshlrev_b64 v[0:1], 4, v[4:5]
	s_waitcnt lgkmcnt(0)
	s_mul_i32 s58, s44, s45
	s_addc_u32 s41, s21, s41
	s_ashr_i32 s59, s58, 31
	v_mov_b32_e32 v2, s41
	v_add_co_u32_e32 v16, vcc, s18, v0
	s_lshl_b64 s[60:61], s[4:5], 4
	s_lshl_b64 s[62:63], s[58:59], 4
	;; [unrolled: 1-line block ×3, first 2 shown]
	v_addc_co_u32_e32 v17, vcc, v2, v1, vcc
	s_sub_u32 s59, 0, s64
	s_mul_i32 s18, s25, s91
	s_mul_hi_u32 s25, s24, s91
	s_mul_i32 s66, s24, s91
	v_add_co_u32_e32 v18, vcc, 8, v16
	s_subb_u32 s95, 0, s65
	s_add_i32 s43, s25, s18
	s_mov_b32 s42, s66
	v_addc_co_u32_e32 v19, vcc, 0, v17, vcc
	s_lshl_b64 s[42:43], s[42:43], 4
	s_add_i32 s25, s90, 1
	v_mov_b32_e32 v2, s27
	v_add_co_u32_e32 v3, vcc, s6, v0
	s_add_u32 s18, s42, s2
	v_addc_co_u32_e32 v2, vcc, v2, v1, vcc
	s_addc_u32 s41, s43, s3
	v_add_co_u32_e32 v20, vcc, 8, v3
	s_add_u32 s18, s20, s18
	v_addc_co_u32_e32 v21, vcc, 0, v2, vcc
	s_addc_u32 s41, s21, s41
	v_mov_b32_e32 v2, s41
	v_add_co_u32_e32 v3, vcc, s18, v0
	s_add_u32 s18, s2, s64
	v_addc_co_u32_e32 v2, vcc, v2, v1, vcc
	s_addc_u32 s41, s3, s65
	v_add_co_u32_e32 v22, vcc, 8, v3
	s_add_u32 s18, s20, s18
	v_addc_co_u32_e32 v23, vcc, 0, v2, vcc
	s_addc_u32 s41, s21, s41
	v_mov_b32_e32 v2, s41
	v_add_co_u32_e32 v3, vcc, s18, v0
	v_addc_co_u32_e32 v2, vcc, v2, v1, vcc
	v_mad_i64_i32 v[0:1], s[42:43], s24, v4, 0
	v_add_co_u32_e32 v24, vcc, 8, v3
	v_lshlrev_b64 v[0:1], 4, v[0:1]
	v_addc_co_u32_e32 v25, vcc, 0, v2, vcc
	s_mov_b32 s41, s51
	v_mov_b32_e32 v2, s3
	v_add_co_u32_e32 v0, vcc, s2, v0
	s_add_i32 s50, s19, -1
	s_lshl_b64 s[2:3], s[40:41], 3
	s_add_u32 s48, s8, s2
	s_addc_u32 s49, s9, s3
	s_add_u32 s46, s12, s2
	s_addc_u32 s47, s13, s3
	s_lshl_b64 s[2:3], s[40:41], 4
	s_add_u32 s2, s20, s2
	v_addc_co_u32_e32 v1, vcc, v1, v2, vcc
	s_addc_u32 s3, s21, s3
	v_mov_b32_e32 v2, s3
	v_add_co_u32_e32 v26, vcc, s2, v0
	v_addc_co_u32_e32 v27, vcc, v2, v1, vcc
	v_add_co_u32_e32 v28, vcc, 8, v26
	v_addc_co_u32_e32 v29, vcc, 0, v27, vcc
	s_mul_hi_i32 s3, s24, s58
	s_mul_i32 s2, s24, s58
	v_mov_b32_e32 v2, s21
	v_add_co_u32_e32 v3, vcc, s20, v0
	s_lshl_b64 s[68:69], s[2:3], 4
	s_add_i32 s44, s19, 1
	s_lshl_b64 s[2:3], s[50:51], 4
	v_addc_co_u32_e32 v2, vcc, v2, v1, vcc
	s_add_u32 s2, s20, s2
	v_add_co_u32_e32 v30, vcc, 8, v3
	s_addc_u32 s3, s21, s3
	v_addc_co_u32_e32 v31, vcc, 0, v2, vcc
	v_mov_b32_e32 v5, s3
	v_add_co_u32_e32 v0, vcc, s2, v0
	v_addc_co_u32_e32 v1, vcc, v5, v1, vcc
	v_add_co_u32_e32 v32, vcc, 8, v0
	v_addc_co_u32_e32 v33, vcc, 0, v1, vcc
	;; [unrolled: 2-line block ×4, first 2 shown]
	s_mul_hi_i32 s67, s24, s91
	s_mov_b32 s54, s19
	v_mov_b32_e32 v38, 0
	v_cmp_gt_i32_e64 s[2:3], s90, v4
	s_branch .LBB66_4
.LBB66_2:                               ;   in Loop: Header=BB66_4 Depth=1
	s_or_b64 exec, exec, s[72:73]
.LBB66_3:                               ;   in Loop: Header=BB66_4 Depth=1
	s_add_i32 s7, s7, s26
	s_cmp_ge_u32 s7, s33
	s_cbranch_scc1 .LBB66_108
.LBB66_4:                               ; =>This Loop Header: Depth=1
                                        ;     Child Loop BB66_19 Depth 2
                                        ;       Child Loop BB66_20 Depth 3
                                        ;     Child Loop BB66_26 Depth 2
                                        ;       Child Loop BB66_27 Depth 3
                                        ;     Child Loop BB66_34 Depth 2
                                        ;       Child Loop BB66_35 Depth 3
                                        ;     Child Loop BB66_42 Depth 2
                                        ;       Child Loop BB66_43 Depth 3
                                        ;     Child Loop BB66_50 Depth 2
                                        ;       Child Loop BB66_52 Depth 3
                                        ;     Child Loop BB66_59 Depth 2
                                        ;       Child Loop BB66_60 Depth 3
                                        ;     Child Loop BB66_67 Depth 2
                                        ;       Child Loop BB66_68 Depth 3
                                        ;     Child Loop BB66_75 Depth 2
                                        ;       Child Loop BB66_76 Depth 3
                                        ;     Child Loop BB66_83 Depth 2
                                        ;       Child Loop BB66_84 Depth 3
                                        ;     Child Loop BB66_91 Depth 2
                                        ;       Child Loop BB66_92 Depth 3
                                        ;     Child Loop BB66_99 Depth 2
                                        ;       Child Loop BB66_100 Depth 3
                                        ;     Child Loop BB66_106 Depth 2
                                        ;       Child Loop BB66_107 Depth 3
	s_mul_i32 s18, s15, s7
	s_mul_hi_u32 s20, s14, s7
	s_add_i32 s40, s20, s18
	s_mul_i32 s41, s14, s7
	s_add_u32 s20, s12, s41
	s_mul_i32 s18, s11, s7
	s_mul_hi_u32 s42, s10, s7
	s_addc_u32 s21, s13, s40
	s_add_i32 s78, s42, s18
	s_mul_i32 s79, s10, s7
	s_add_u32 s70, s8, s79
	s_mul_i32 s18, s61, s7
	s_mul_hi_u32 s42, s60, s7
	s_addc_u32 s71, s9, s78
	s_add_i32 s42, s42, s18
	s_mul_i32 s18, s5, s7
	s_mul_hi_u32 s45, s4, s7
	s_add_i32 s73, s45, s18
	s_mul_i32 s72, s4, s7
	s_lshl_b64 s[72:73], s[72:73], 4
	s_add_u32 s45, s6, s72
	s_mul_i32 s43, s60, s7
	s_addc_u32 s51, s27, s73
	s_and_b64 vcc, exec, s[16:17]
	s_mov_b64 s[72:73], -1
	s_cbranch_vccnz .LBB66_6
; %bb.5:                                ;   in Loop: Header=BB66_4 Depth=1
	s_andn2_b64 vcc, exec, s[72:73]
	s_cbranch_vccnz .LBB66_3
	s_branch .LBB66_103
.LBB66_6:                               ;   in Loop: Header=BB66_4 Depth=1
	s_add_u32 s72, s48, s79
	s_addc_u32 s73, s49, s78
	s_add_u32 s74, s46, s41
	s_addc_u32 s75, s47, s40
	s_mov_b64 s[76:77], -1
	s_and_b64 vcc, exec, s[22:23]
	s_cbranch_vccz .LBB66_95
; %bb.7:                                ;   in Loop: Header=BB66_4 Depth=1
	s_and_b64 vcc, exec, s[28:29]
	s_cbranch_vccz .LBB66_87
; %bb.8:                                ;   in Loop: Header=BB66_4 Depth=1
	;; [unrolled: 3-line block ×3, first 2 shown]
	s_and_b64 vcc, exec, s[34:35]
	s_cbranch_vccz .LBB66_71
; %bb.10:                               ;   in Loop: Header=BB66_4 Depth=1
	s_and_b64 vcc, exec, s[36:37]
	s_cbranch_vccz .LBB66_63
; %bb.11:                               ;   in Loop: Header=BB66_4 Depth=1
	v_mov_b32_e32 v0, s42
	v_add_co_u32_e32 v5, vcc, s43, v20
	v_addc_co_u32_e32 v6, vcc, v21, v0, vcc
	s_and_b64 vcc, exec, s[38:39]
	s_cbranch_vccz .LBB66_55
; %bb.12:                               ;   in Loop: Header=BB66_4 Depth=1
	v_readlane_b32 s18, v56, 10
	s_add_u32 s76, s18, s79
	s_addc_u32 s77, s92, s78
	s_add_u32 s78, s93, s41
	v_mov_b32_e32 v0, s42
	v_add_co_u32_e32 v7, vcc, s43, v22
	s_addc_u32 s79, s94, s40
	v_readlane_b32 s40, v56, 0
	v_addc_co_u32_e32 v8, vcc, v23, v0, vcc
	v_readlane_b32 s41, v56, 1
	s_mov_b64 s[80:81], -1
	s_and_b64 vcc, exec, s[40:41]
	s_cbranch_vccz .LBB66_46
; %bb.13:                               ;   in Loop: Header=BB66_4 Depth=1
	v_readlane_b32 s40, v56, 2
	v_readlane_b32 s41, v56, 3
	s_and_b64 vcc, exec, s[40:41]
	s_cbranch_vccz .LBB66_38
; %bb.14:                               ;   in Loop: Header=BB66_4 Depth=1
	v_readlane_b32 s40, v56, 4
	v_readlane_b32 s41, v56, 5
	;; [unrolled: 5-line block ×3, first 2 shown]
	s_and_b64 vcc, exec, s[40:41]
	s_cbranch_vccz .LBB66_22
; %bb.16:                               ;   in Loop: Header=BB66_4 Depth=1
	s_mov_b64 s[80:81], exec
	v_readlane_b32 s40, v56, 8
	v_readlane_b32 s41, v56, 9
	s_and_b64 s[40:41], s[80:81], s[40:41]
	s_mov_b64 exec, s[40:41]
	s_cbranch_execz .LBB66_21
; %bb.17:                               ;   in Loop: Header=BB66_4 Depth=1
	s_lshl_b64 s[40:41], s[66:67], 4
	v_mov_b32_e32 v0, s42
	v_add_co_u32_e32 v9, vcc, s43, v18
	s_add_u32 s40, s45, s40
	v_addc_co_u32_e32 v10, vcc, v19, v0, vcc
	s_addc_u32 s41, s51, s41
	s_mov_b64 s[82:83], 0
	v_mov_b32_e32 v11, v4
	s_branch .LBB66_19
.LBB66_18:                              ;   in Loop: Header=BB66_19 Depth=2
	v_add_u32_e32 v11, s58, v11
	v_cmp_le_i32_e32 vcc, s19, v11
	s_waitcnt vmcnt(0)
	global_store_dwordx4 v[12:13], v[0:3], off
	s_or_b64 s[82:83], vcc, s[82:83]
	v_mov_b32_e32 v0, s63
	v_add_co_u32_e32 v9, vcc, s62, v9
	v_addc_co_u32_e32 v10, vcc, v10, v0, vcc
	s_andn2_b64 exec, exec, s[82:83]
	s_cbranch_execz .LBB66_21
.LBB66_19:                              ;   Parent Loop BB66_4 Depth=1
                                        ; =>  This Loop Header: Depth=2
                                        ;       Child Loop BB66_20 Depth 3
	v_ashrrev_i32_e32 v12, 31, v11
	v_lshlrev_b64 v[0:1], 4, v[11:12]
	v_mov_b32_e32 v2, s41
	v_add_co_u32_e32 v12, vcc, s40, v0
	v_addc_co_u32_e32 v13, vcc, v2, v1, vcc
	global_load_dwordx4 v[0:3], v[12:13], off
	v_mov_b32_e32 v15, v10
	s_andn2_b64 vcc, exec, s[52:53]
	v_mov_b32_e32 v14, v9
	s_mov_b64 s[84:85], s[78:79]
	s_mov_b64 s[86:87], s[76:77]
	s_mov_b32 s18, s91
	s_cbranch_vccnz .LBB66_18
.LBB66_20:                              ;   Parent Loop BB66_4 Depth=1
                                        ;     Parent Loop BB66_19 Depth=2
                                        ; =>    This Inner Loop Header: Depth=3
	global_load_dwordx4 v[39:42], v[14:15], off offset:-8
	global_load_dwordx2 v[43:44], v38, s[86:87]
	global_load_dwordx2 v[45:46], v38, s[84:85]
	s_add_i32 s18, s18, -1
	s_add_u32 s86, s86, -8
	s_addc_u32 s87, s87, -1
	s_add_u32 s84, s84, -8
	v_mov_b32_e32 v55, s95
	s_addc_u32 s85, s85, -1
	s_cmp_eq_u32 s18, 0
	s_waitcnt vmcnt(1)
	v_mul_f64 v[47:48], v[43:44], v[39:40]
	v_mul_f64 v[49:50], v[43:44], v[41:42]
	s_waitcnt vmcnt(0)
	v_mul_f64 v[51:52], v[45:46], v[39:40]
	v_mul_f64 v[53:54], v[45:46], v[41:42]
	v_fma_f64 v[39:40], v[0:1], v[45:46], v[47:48]
	v_fma_f64 v[41:42], v[2:3], v[45:46], v[49:50]
	v_fma_f64 v[0:1], v[0:1], v[43:44], -v[51:52]
	v_fma_f64 v[2:3], v[2:3], v[43:44], -v[53:54]
	global_store_dwordx4 v[14:15], v[39:42], off offset:-8
	v_add_co_u32_e32 v14, vcc, s59, v14
	v_addc_co_u32_e32 v15, vcc, v15, v55, vcc
	s_cbranch_scc0 .LBB66_20
	s_branch .LBB66_18
.LBB66_21:                              ;   in Loop: Header=BB66_4 Depth=1
	s_or_b64 exec, exec, s[80:81]
	s_mov_b64 s[80:81], 0
.LBB66_22:                              ;   in Loop: Header=BB66_4 Depth=1
	s_andn2_b64 vcc, exec, s[80:81]
	s_cbranch_vccnz .LBB66_29
; %bb.23:                               ;   in Loop: Header=BB66_4 Depth=1
	s_and_saveexec_b64 s[80:81], s[0:1]
	s_cbranch_execz .LBB66_28
; %bb.24:                               ;   in Loop: Header=BB66_4 Depth=1
	s_lshl_b64 s[40:41], s[66:67], 4
	s_add_u32 s40, s45, s40
	v_mov_b32_e32 v10, v6
	s_addc_u32 s41, s51, s41
	s_mov_b64 s[82:83], 0
	v_mov_b32_e32 v9, v5
	v_mov_b32_e32 v11, v4
	s_branch .LBB66_26
.LBB66_25:                              ;   in Loop: Header=BB66_26 Depth=2
	v_add_u32_e32 v11, s58, v11
	v_cmp_le_i32_e32 vcc, s19, v11
	s_waitcnt vmcnt(0)
	global_store_dwordx4 v[12:13], v[0:3], off
	s_or_b64 s[82:83], vcc, s[82:83]
	v_mov_b32_e32 v0, s63
	v_add_co_u32_e32 v9, vcc, s62, v9
	v_addc_co_u32_e32 v10, vcc, v10, v0, vcc
	s_andn2_b64 exec, exec, s[82:83]
	s_cbranch_execz .LBB66_28
.LBB66_26:                              ;   Parent Loop BB66_4 Depth=1
                                        ; =>  This Loop Header: Depth=2
                                        ;       Child Loop BB66_27 Depth 3
	v_ashrrev_i32_e32 v12, 31, v11
	v_lshlrev_b64 v[0:1], 4, v[11:12]
	v_mov_b32_e32 v2, s41
	v_add_co_u32_e32 v12, vcc, s40, v0
	v_addc_co_u32_e32 v13, vcc, v2, v1, vcc
	global_load_dwordx4 v[0:3], v[12:13], off
	v_mov_b32_e32 v15, v10
	s_andn2_b64 vcc, exec, s[52:53]
	v_mov_b32_e32 v14, v9
	s_mov_b64 s[84:85], s[20:21]
	s_mov_b64 s[86:87], s[70:71]
	s_mov_b32 s18, s91
	s_cbranch_vccnz .LBB66_25
.LBB66_27:                              ;   Parent Loop BB66_4 Depth=1
                                        ;     Parent Loop BB66_26 Depth=2
                                        ; =>    This Inner Loop Header: Depth=3
	global_load_dwordx4 v[39:42], v[14:15], off offset:-8
	global_load_dwordx2 v[43:44], v38, s[86:87]
	global_load_dwordx2 v[45:46], v38, s[84:85]
	s_add_i32 s18, s18, -1
	s_add_u32 s86, s86, 8
	s_addc_u32 s87, s87, 0
	s_add_u32 s84, s84, 8
	v_mov_b32_e32 v55, s65
	s_addc_u32 s85, s85, 0
	s_cmp_eq_u32 s18, 0
	s_waitcnt vmcnt(1)
	v_mul_f64 v[47:48], v[43:44], v[39:40]
	v_mul_f64 v[49:50], v[43:44], v[41:42]
	s_waitcnt vmcnt(0)
	v_mul_f64 v[51:52], v[45:46], v[39:40]
	v_mul_f64 v[53:54], v[45:46], v[41:42]
	v_fma_f64 v[39:40], v[0:1], v[45:46], v[47:48]
	v_fma_f64 v[41:42], v[2:3], v[45:46], v[49:50]
	v_fma_f64 v[0:1], v[0:1], v[43:44], -v[51:52]
	v_fma_f64 v[2:3], v[2:3], v[43:44], -v[53:54]
	global_store_dwordx4 v[14:15], v[39:42], off offset:-8
	v_add_co_u32_e32 v14, vcc, s64, v14
	v_addc_co_u32_e32 v15, vcc, v15, v55, vcc
	s_cbranch_scc0 .LBB66_27
	s_branch .LBB66_25
.LBB66_28:                              ;   in Loop: Header=BB66_4 Depth=1
	s_or_b64 exec, exec, s[80:81]
.LBB66_29:                              ;   in Loop: Header=BB66_4 Depth=1
	s_mov_b64 s[80:81], 0
.LBB66_30:                              ;   in Loop: Header=BB66_4 Depth=1
	s_andn2_b64 vcc, exec, s[80:81]
	s_cbranch_vccnz .LBB66_37
; %bb.31:                               ;   in Loop: Header=BB66_4 Depth=1
	s_and_saveexec_b64 s[80:81], s[0:1]
	s_cbranch_execz .LBB66_36
; %bb.32:                               ;   in Loop: Header=BB66_4 Depth=1
	v_mov_b32_e32 v10, v8
	s_mov_b64 s[82:83], 0
	v_mov_b32_e32 v9, v7
	v_mov_b32_e32 v11, v4
	s_branch .LBB66_34
.LBB66_33:                              ;   in Loop: Header=BB66_34 Depth=2
	v_add_u32_e32 v11, s58, v11
	v_cmp_le_i32_e32 vcc, s19, v11
	s_waitcnt vmcnt(0)
	global_store_dwordx4 v[12:13], v[0:3], off
	s_or_b64 s[82:83], vcc, s[82:83]
	v_mov_b32_e32 v0, s63
	v_add_co_u32_e32 v9, vcc, s62, v9
	v_addc_co_u32_e32 v10, vcc, v10, v0, vcc
	s_andn2_b64 exec, exec, s[82:83]
	s_cbranch_execz .LBB66_36
.LBB66_34:                              ;   Parent Loop BB66_4 Depth=1
                                        ; =>  This Loop Header: Depth=2
                                        ;       Child Loop BB66_35 Depth 3
	v_ashrrev_i32_e32 v12, 31, v11
	v_lshlrev_b64 v[0:1], 4, v[11:12]
	v_mov_b32_e32 v2, s51
	v_add_co_u32_e32 v12, vcc, s45, v0
	v_addc_co_u32_e32 v13, vcc, v2, v1, vcc
	global_load_dwordx4 v[0:3], v[12:13], off
	v_mov_b32_e32 v15, v10
	s_andn2_b64 vcc, exec, s[52:53]
	v_mov_b32_e32 v14, v9
	s_mov_b64 s[84:85], s[78:79]
	s_mov_b64 s[86:87], s[76:77]
	s_mov_b32 s40, s25
	s_cbranch_vccnz .LBB66_33
.LBB66_35:                              ;   Parent Loop BB66_4 Depth=1
                                        ;     Parent Loop BB66_34 Depth=2
                                        ; =>    This Inner Loop Header: Depth=3
	global_load_dwordx2 v[43:44], v38, s[84:85]
	global_load_dwordx4 v[39:42], v[14:15], off offset:-8
	global_load_dwordx2 v[45:46], v38, s[86:87]
	s_add_i32 s40, s40, -1
	s_add_u32 s86, s86, -8
	s_addc_u32 s87, s87, -1
	s_add_u32 s84, s84, -8
	v_mov_b32_e32 v53, s95
	s_addc_u32 s85, s85, -1
	s_cmp_lt_u32 s40, 3
	s_waitcnt vmcnt(2)
	v_mul_f64 v[47:48], v[0:1], v[43:44]
	v_mul_f64 v[49:50], v[2:3], v[43:44]
	s_waitcnt vmcnt(1)
	v_mul_f64 v[51:52], v[43:44], v[39:40]
	v_mul_f64 v[43:44], v[43:44], v[41:42]
	s_waitcnt vmcnt(0)
	v_fma_f64 v[39:40], v[45:46], v[39:40], -v[47:48]
	v_fma_f64 v[41:42], v[45:46], v[41:42], -v[49:50]
	v_fma_f64 v[0:1], v[0:1], v[45:46], v[51:52]
	v_fma_f64 v[2:3], v[2:3], v[45:46], v[43:44]
	global_store_dwordx4 v[14:15], v[39:42], off offset:-8
	v_add_co_u32_e32 v14, vcc, s59, v14
	v_addc_co_u32_e32 v15, vcc, v15, v53, vcc
	s_cbranch_scc0 .LBB66_35
	s_branch .LBB66_33
.LBB66_36:                              ;   in Loop: Header=BB66_4 Depth=1
	s_or_b64 exec, exec, s[80:81]
.LBB66_37:                              ;   in Loop: Header=BB66_4 Depth=1
	s_mov_b64 s[80:81], 0
.LBB66_38:                              ;   in Loop: Header=BB66_4 Depth=1
	s_andn2_b64 vcc, exec, s[80:81]
	s_cbranch_vccnz .LBB66_45
; %bb.39:                               ;   in Loop: Header=BB66_4 Depth=1
	s_and_saveexec_b64 s[80:81], s[0:1]
	s_cbranch_execz .LBB66_44
; %bb.40:                               ;   in Loop: Header=BB66_4 Depth=1
	v_mov_b32_e32 v0, s42
	v_add_co_u32_e32 v9, vcc, s43, v24
	v_addc_co_u32_e32 v10, vcc, v25, v0, vcc
	s_mov_b64 s[82:83], 0
	v_mov_b32_e32 v11, v4
	s_branch .LBB66_42
.LBB66_41:                              ;   in Loop: Header=BB66_42 Depth=2
	v_add_u32_e32 v11, s58, v11
	v_cmp_le_i32_e32 vcc, s19, v11
	s_waitcnt vmcnt(0)
	global_store_dwordx4 v[12:13], v[0:3], off
	s_or_b64 s[82:83], vcc, s[82:83]
	v_mov_b32_e32 v0, s63
	v_add_co_u32_e32 v9, vcc, s62, v9
	v_addc_co_u32_e32 v10, vcc, v10, v0, vcc
	s_andn2_b64 exec, exec, s[82:83]
	s_cbranch_execz .LBB66_44
.LBB66_42:                              ;   Parent Loop BB66_4 Depth=1
                                        ; =>  This Loop Header: Depth=2
                                        ;       Child Loop BB66_43 Depth 3
	v_ashrrev_i32_e32 v12, 31, v11
	v_lshlrev_b64 v[0:1], 4, v[11:12]
	v_mov_b32_e32 v2, s51
	v_add_co_u32_e32 v12, vcc, s45, v0
	v_addc_co_u32_e32 v13, vcc, v2, v1, vcc
	global_load_dwordx4 v[0:3], v[12:13], off
	v_mov_b32_e32 v15, v10
	s_andn2_b64 vcc, exec, s[52:53]
	v_mov_b32_e32 v14, v9
	s_mov_b32 s40, s91
	s_mov_b64 s[84:85], s[70:71]
	s_mov_b64 s[86:87], s[20:21]
	s_cbranch_vccnz .LBB66_41
.LBB66_43:                              ;   Parent Loop BB66_4 Depth=1
                                        ;     Parent Loop BB66_42 Depth=2
                                        ; =>    This Inner Loop Header: Depth=3
	global_load_dwordx2 v[43:44], v38, s[86:87]
	global_load_dwordx4 v[39:42], v[14:15], off offset:-8
	global_load_dwordx2 v[45:46], v38, s[84:85]
	s_add_u32 s86, s86, 8
	s_addc_u32 s87, s87, 0
	s_add_u32 s84, s84, 8
	v_mov_b32_e32 v53, s65
	s_addc_u32 s85, s85, 0
	s_add_i32 s40, s40, -1
	s_cmp_eq_u32 s40, 0
	s_waitcnt vmcnt(2)
	v_mul_f64 v[47:48], v[0:1], v[43:44]
	v_mul_f64 v[49:50], v[2:3], v[43:44]
	s_waitcnt vmcnt(1)
	v_mul_f64 v[51:52], v[43:44], v[39:40]
	v_mul_f64 v[43:44], v[43:44], v[41:42]
	s_waitcnt vmcnt(0)
	v_fma_f64 v[39:40], v[45:46], v[39:40], -v[47:48]
	v_fma_f64 v[41:42], v[45:46], v[41:42], -v[49:50]
	v_fma_f64 v[0:1], v[0:1], v[45:46], v[51:52]
	v_fma_f64 v[2:3], v[2:3], v[45:46], v[43:44]
	global_store_dwordx4 v[14:15], v[39:42], off offset:-8
	v_add_co_u32_e32 v14, vcc, s64, v14
	v_addc_co_u32_e32 v15, vcc, v15, v53, vcc
	s_cbranch_scc0 .LBB66_43
	s_branch .LBB66_41
.LBB66_44:                              ;   in Loop: Header=BB66_4 Depth=1
	s_or_b64 exec, exec, s[80:81]
.LBB66_45:                              ;   in Loop: Header=BB66_4 Depth=1
	s_mov_b64 s[80:81], 0
.LBB66_46:                              ;   in Loop: Header=BB66_4 Depth=1
	s_andn2_b64 vcc, exec, s[80:81]
	s_cbranch_vccnz .LBB66_54
; %bb.47:                               ;   in Loop: Header=BB66_4 Depth=1
	s_and_saveexec_b64 s[80:81], s[0:1]
	s_cbranch_execz .LBB66_53
; %bb.48:                               ;   in Loop: Header=BB66_4 Depth=1
	s_lshl_b64 s[40:41], s[66:67], 4
	v_mov_b32_e32 v0, s42
	v_add_co_u32_e32 v12, vcc, s43, v16
	s_add_u32 s40, s45, s40
	v_addc_co_u32_e32 v13, vcc, v17, v0, vcc
	s_addc_u32 s41, s51, s41
	s_mov_b64 s[82:83], 0
	v_mov_b32_e32 v9, v4
	s_branch .LBB66_50
.LBB66_49:                              ;   in Loop: Header=BB66_50 Depth=2
	v_mov_b32_e32 v14, s51
	v_add_co_u32_e32 v10, vcc, s45, v10
	v_addc_co_u32_e32 v11, vcc, v14, v11, vcc
	s_waitcnt vmcnt(0)
	global_store_dwordx4 v[10:11], v[0:3], off
	v_add_co_u32_e32 v12, vcc, s62, v12
	v_mov_b32_e32 v0, s63
	v_add_u32_e32 v9, s58, v9
	v_addc_co_u32_e32 v13, vcc, v13, v0, vcc
	v_cmp_le_i32_e32 vcc, s19, v9
	s_or_b64 s[82:83], vcc, s[82:83]
	v_add_co_u32_e32 v7, vcc, s62, v7
	v_addc_co_u32_e32 v8, vcc, v8, v0, vcc
	s_andn2_b64 exec, exec, s[82:83]
	s_cbranch_execz .LBB66_53
.LBB66_50:                              ;   Parent Loop BB66_4 Depth=1
                                        ; =>  This Loop Header: Depth=2
                                        ;       Child Loop BB66_52 Depth 3
	v_ashrrev_i32_e32 v10, 31, v9
	v_lshlrev_b64 v[10:11], 4, v[9:10]
	v_mov_b32_e32 v1, s41
	v_add_co_u32_e32 v0, vcc, s40, v10
	v_addc_co_u32_e32 v1, vcc, v1, v11, vcc
	global_load_dwordx4 v[0:3], v[0:1], off
	s_andn2_b64 vcc, exec, s[52:53]
	s_cbranch_vccnz .LBB66_49
; %bb.51:                               ;   in Loop: Header=BB66_50 Depth=2
	s_mov_b64 s[84:85], 0
	s_mov_b64 s[86:87], s[78:79]
	;; [unrolled: 1-line block ×3, first 2 shown]
	s_mov_b32 s18, s91
.LBB66_52:                              ;   Parent Loop BB66_4 Depth=1
                                        ;     Parent Loop BB66_50 Depth=2
                                        ; =>    This Inner Loop Header: Depth=3
	v_mov_b32_e32 v54, s85
	v_add_co_u32_e32 v39, vcc, s84, v12
	v_addc_co_u32_e32 v40, vcc, v13, v54, vcc
	global_load_dwordx2 v[14:15], v38, s[86:87]
	s_nop 0
	global_load_dwordx4 v[39:42], v[39:40], off
	s_nop 0
	global_load_dwordx2 v[43:44], v38, s[88:89]
	s_add_i32 s18, s18, -1
	v_add_co_u32_e32 v53, vcc, s84, v7
	s_sub_u32 s84, s84, s64
	s_subb_u32 s85, s85, s65
	s_add_u32 s88, s88, -8
	s_addc_u32 s89, s89, -1
	s_add_u32 s86, s86, -8
	s_addc_u32 s87, s87, -1
	v_addc_co_u32_e32 v54, vcc, v8, v54, vcc
	s_cmp_eq_u32 s18, 0
	s_waitcnt vmcnt(1)
	v_mul_f64 v[45:46], v[14:15], v[39:40]
	v_mul_f64 v[47:48], v[14:15], v[41:42]
	s_waitcnt vmcnt(0)
	v_mul_f64 v[49:50], v[43:44], v[39:40]
	v_mul_f64 v[51:52], v[43:44], v[41:42]
	v_fma_f64 v[39:40], v[0:1], v[43:44], -v[45:46]
	v_fma_f64 v[41:42], v[2:3], v[43:44], -v[47:48]
	v_fma_f64 v[0:1], v[0:1], v[14:15], v[49:50]
	v_fma_f64 v[2:3], v[2:3], v[14:15], v[51:52]
	global_store_dwordx4 v[53:54], v[39:42], off offset:-8
	s_cbranch_scc0 .LBB66_52
	s_branch .LBB66_49
.LBB66_53:                              ;   in Loop: Header=BB66_4 Depth=1
	s_or_b64 exec, exec, s[80:81]
.LBB66_54:                              ;   in Loop: Header=BB66_4 Depth=1
	s_mov_b64 s[76:77], 0
.LBB66_55:                              ;   in Loop: Header=BB66_4 Depth=1
	s_andn2_b64 vcc, exec, s[76:77]
	s_cbranch_vccnz .LBB66_62
; %bb.56:                               ;   in Loop: Header=BB66_4 Depth=1
	s_and_saveexec_b64 s[76:77], s[0:1]
	s_cbranch_execz .LBB66_61
; %bb.57:                               ;   in Loop: Header=BB66_4 Depth=1
	s_lshl_b64 s[40:41], s[66:67], 4
	s_add_u32 s40, s45, s40
	s_addc_u32 s41, s51, s41
	s_mov_b64 s[78:79], 0
	v_mov_b32_e32 v7, v4
	s_branch .LBB66_59
.LBB66_58:                              ;   in Loop: Header=BB66_59 Depth=2
	v_mov_b32_e32 v10, s41
	v_add_co_u32_e32 v8, vcc, s40, v8
	v_addc_co_u32_e32 v9, vcc, v10, v9, vcc
	v_add_u32_e32 v7, s58, v7
	v_cmp_le_i32_e32 vcc, s19, v7
	s_waitcnt vmcnt(0)
	global_store_dwordx4 v[8:9], v[0:3], off
	s_or_b64 s[78:79], vcc, s[78:79]
	v_mov_b32_e32 v0, s63
	v_add_co_u32_e32 v5, vcc, s62, v5
	v_addc_co_u32_e32 v6, vcc, v6, v0, vcc
	s_andn2_b64 exec, exec, s[78:79]
	s_cbranch_execz .LBB66_61
.LBB66_59:                              ;   Parent Loop BB66_4 Depth=1
                                        ; =>  This Loop Header: Depth=2
                                        ;       Child Loop BB66_60 Depth 3
	v_ashrrev_i32_e32 v8, 31, v7
	v_lshlrev_b64 v[8:9], 4, v[7:8]
	v_mov_b32_e32 v1, s51
	v_add_co_u32_e32 v0, vcc, s45, v8
	v_addc_co_u32_e32 v1, vcc, v1, v9, vcc
	global_load_dwordx4 v[0:3], v[0:1], off
	v_mov_b32_e32 v11, v6
	s_andn2_b64 vcc, exec, s[52:53]
	s_mov_b64 s[80:81], s[20:21]
	s_mov_b64 s[82:83], s[70:71]
	v_mov_b32_e32 v10, v5
	s_mov_b32 s18, s91
	s_cbranch_vccnz .LBB66_58
.LBB66_60:                              ;   Parent Loop BB66_4 Depth=1
                                        ;     Parent Loop BB66_59 Depth=2
                                        ; =>    This Inner Loop Header: Depth=3
	v_mov_b32_e32 v12, s65
	v_add_co_u32_e32 v43, vcc, s64, v10
	v_addc_co_u32_e32 v44, vcc, v11, v12, vcc
	global_load_dwordx4 v[12:15], v[43:44], off offset:-8
	global_load_dwordx2 v[39:40], v38, s[80:81]
	global_load_dwordx2 v[45:46], v38, s[82:83]
	s_add_i32 s18, s18, -1
	s_add_u32 s82, s82, 8
	s_addc_u32 s83, s83, 0
	s_add_u32 s80, s80, 8
	s_addc_u32 s81, s81, 0
	s_cmp_eq_u32 s18, 0
	s_waitcnt vmcnt(1)
	v_mul_f64 v[41:42], v[39:40], v[12:13]
	v_mul_f64 v[47:48], v[39:40], v[14:15]
	;; [unrolled: 1-line block ×4, first 2 shown]
	s_waitcnt vmcnt(0)
	v_fma_f64 v[39:40], v[0:1], v[45:46], v[41:42]
	v_fma_f64 v[41:42], v[2:3], v[45:46], v[47:48]
	v_fma_f64 v[0:1], v[45:46], v[12:13], -v[49:50]
	v_fma_f64 v[2:3], v[45:46], v[14:15], -v[51:52]
	global_store_dwordx4 v[10:11], v[39:42], off offset:-8
	v_mov_b32_e32 v10, v43
	v_mov_b32_e32 v11, v44
	s_cbranch_scc0 .LBB66_60
	s_branch .LBB66_58
.LBB66_61:                              ;   in Loop: Header=BB66_4 Depth=1
	s_or_b64 exec, exec, s[76:77]
.LBB66_62:                              ;   in Loop: Header=BB66_4 Depth=1
	s_mov_b64 s[76:77], 0
.LBB66_63:                              ;   in Loop: Header=BB66_4 Depth=1
	s_andn2_b64 vcc, exec, s[76:77]
	s_cbranch_vccnz .LBB66_70
; %bb.64:                               ;   in Loop: Header=BB66_4 Depth=1
	s_and_saveexec_b64 s[76:77], s[2:3]
	s_cbranch_execz .LBB66_69
; %bb.65:                               ;   in Loop: Header=BB66_4 Depth=1
	s_lshl_b64 s[40:41], s[54:55], 4
	v_mov_b32_e32 v0, s42
	v_add_co_u32_e32 v5, vcc, s43, v28
	s_add_u32 s40, s45, s40
	v_addc_co_u32_e32 v6, vcc, v29, v0, vcc
	s_addc_u32 s41, s51, s41
	s_mov_b64 s[78:79], 0
	v_mov_b32_e32 v11, v4
	s_branch .LBB66_67
.LBB66_66:                              ;   in Loop: Header=BB66_67 Depth=2
	v_add_u32_e32 v11, s58, v11
	v_cmp_le_i32_e32 vcc, s90, v11
	s_waitcnt vmcnt(0)
	global_store_dwordx4 v[7:8], v[0:3], off offset:-16
	s_or_b64 s[78:79], vcc, s[78:79]
	v_mov_b32_e32 v0, s69
	v_add_co_u32_e32 v5, vcc, s68, v5
	v_addc_co_u32_e32 v6, vcc, v6, v0, vcc
	s_andn2_b64 exec, exec, s[78:79]
	s_cbranch_execz .LBB66_69
.LBB66_67:                              ;   Parent Loop BB66_4 Depth=1
                                        ; =>  This Loop Header: Depth=2
                                        ;       Child Loop BB66_68 Depth 3
	v_mad_i64_i32 v[0:1], s[80:81], v11, s24, 0
	v_mov_b32_e32 v2, s41
	v_mov_b32_e32 v10, v6
	v_lshlrev_b64 v[0:1], 4, v[0:1]
	v_mov_b32_e32 v9, v5
	v_add_co_u32_e32 v7, vcc, s40, v0
	v_addc_co_u32_e32 v8, vcc, v2, v1, vcc
	global_load_dwordx4 v[0:3], v[7:8], off offset:-16
	s_andn2_b64 vcc, exec, s[56:57]
	s_mov_b64 s[80:81], s[74:75]
	s_mov_b64 s[82:83], s[72:73]
	s_mov_b32 s18, s50
	s_cbranch_vccnz .LBB66_66
.LBB66_68:                              ;   Parent Loop BB66_4 Depth=1
                                        ;     Parent Loop BB66_67 Depth=2
                                        ; =>    This Inner Loop Header: Depth=3
	global_load_dwordx4 v[12:15], v[9:10], off offset:-8
	global_load_dwordx2 v[39:40], v38, s[82:83]
	global_load_dwordx2 v[41:42], v38, s[80:81]
	s_add_i32 s18, s18, -1
	s_add_u32 s82, s82, -8
	s_addc_u32 s83, s83, -1
	s_add_u32 s80, s80, -8
	s_addc_u32 s81, s81, -1
	s_cmp_eq_u32 s18, 0
	s_waitcnt vmcnt(1)
	v_mul_f64 v[43:44], v[39:40], v[12:13]
	v_mul_f64 v[45:46], v[39:40], v[14:15]
	s_waitcnt vmcnt(0)
	v_mul_f64 v[47:48], v[41:42], v[12:13]
	v_mul_f64 v[49:50], v[41:42], v[14:15]
	v_fma_f64 v[12:13], v[0:1], v[41:42], v[43:44]
	v_fma_f64 v[14:15], v[2:3], v[41:42], v[45:46]
	v_fma_f64 v[0:1], v[0:1], v[39:40], -v[47:48]
	v_fma_f64 v[2:3], v[2:3], v[39:40], -v[49:50]
	global_store_dwordx4 v[9:10], v[12:15], off offset:-8
	v_add_co_u32_e32 v9, vcc, -16, v9
	v_addc_co_u32_e32 v10, vcc, -1, v10, vcc
	s_cbranch_scc0 .LBB66_68
	s_branch .LBB66_66
.LBB66_69:                              ;   in Loop: Header=BB66_4 Depth=1
	s_or_b64 exec, exec, s[76:77]
.LBB66_70:                              ;   in Loop: Header=BB66_4 Depth=1
	s_mov_b64 s[76:77], 0
.LBB66_71:                              ;   in Loop: Header=BB66_4 Depth=1
	s_andn2_b64 vcc, exec, s[76:77]
	s_cbranch_vccnz .LBB66_78
; %bb.72:                               ;   in Loop: Header=BB66_4 Depth=1
	s_and_saveexec_b64 s[76:77], s[2:3]
	s_cbranch_execz .LBB66_77
; %bb.73:                               ;   in Loop: Header=BB66_4 Depth=1
	s_lshl_b64 s[40:41], s[54:55], 4
	v_mov_b32_e32 v0, s42
	v_add_co_u32_e32 v5, vcc, s43, v30
	s_add_u32 s40, s45, s40
	v_addc_co_u32_e32 v6, vcc, v31, v0, vcc
	s_addc_u32 s41, s51, s41
	s_mov_b64 s[78:79], 0
	v_mov_b32_e32 v11, v4
	s_branch .LBB66_75
.LBB66_74:                              ;   in Loop: Header=BB66_75 Depth=2
	v_add_u32_e32 v11, s58, v11
	v_cmp_le_i32_e32 vcc, s90, v11
	s_waitcnt vmcnt(0)
	global_store_dwordx4 v[7:8], v[0:3], off offset:-16
	s_or_b64 s[78:79], vcc, s[78:79]
	v_mov_b32_e32 v0, s69
	v_add_co_u32_e32 v5, vcc, s68, v5
	v_addc_co_u32_e32 v6, vcc, v6, v0, vcc
	s_andn2_b64 exec, exec, s[78:79]
	s_cbranch_execz .LBB66_77
.LBB66_75:                              ;   Parent Loop BB66_4 Depth=1
                                        ; =>  This Loop Header: Depth=2
                                        ;       Child Loop BB66_76 Depth 3
	v_mad_i64_i32 v[0:1], s[80:81], v11, s24, 0
	v_mov_b32_e32 v2, s41
	v_mov_b32_e32 v10, v6
	v_lshlrev_b64 v[0:1], 4, v[0:1]
	v_mov_b32_e32 v9, v5
	v_add_co_u32_e32 v7, vcc, s40, v0
	v_addc_co_u32_e32 v8, vcc, v2, v1, vcc
	global_load_dwordx4 v[0:3], v[7:8], off offset:-16
	s_andn2_b64 vcc, exec, s[56:57]
	s_mov_b64 s[80:81], s[20:21]
	s_mov_b64 s[82:83], s[70:71]
	s_mov_b32 s18, s50
	s_cbranch_vccnz .LBB66_74
.LBB66_76:                              ;   Parent Loop BB66_4 Depth=1
                                        ;     Parent Loop BB66_75 Depth=2
                                        ; =>    This Inner Loop Header: Depth=3
	global_load_dwordx4 v[12:15], v[9:10], off offset:-8
	global_load_dwordx2 v[39:40], v38, s[82:83]
	global_load_dwordx2 v[41:42], v38, s[80:81]
	s_add_i32 s18, s18, -1
	s_add_u32 s82, s82, 8
	s_addc_u32 s83, s83, 0
	s_add_u32 s80, s80, 8
	s_addc_u32 s81, s81, 0
	s_cmp_eq_u32 s18, 0
	s_waitcnt vmcnt(1)
	v_mul_f64 v[43:44], v[39:40], v[12:13]
	v_mul_f64 v[45:46], v[39:40], v[14:15]
	s_waitcnt vmcnt(0)
	v_mul_f64 v[47:48], v[41:42], v[12:13]
	v_mul_f64 v[49:50], v[41:42], v[14:15]
	v_fma_f64 v[12:13], v[0:1], v[41:42], v[43:44]
	v_fma_f64 v[14:15], v[2:3], v[41:42], v[45:46]
	v_fma_f64 v[0:1], v[0:1], v[39:40], -v[47:48]
	v_fma_f64 v[2:3], v[2:3], v[39:40], -v[49:50]
	global_store_dwordx4 v[9:10], v[12:15], off offset:-8
	v_add_co_u32_e32 v9, vcc, 16, v9
	v_addc_co_u32_e32 v10, vcc, 0, v10, vcc
	s_cbranch_scc0 .LBB66_76
	s_branch .LBB66_74
.LBB66_77:                              ;   in Loop: Header=BB66_4 Depth=1
	s_or_b64 exec, exec, s[76:77]
.LBB66_78:                              ;   in Loop: Header=BB66_4 Depth=1
	s_mov_b64 s[76:77], 0
.LBB66_79:                              ;   in Loop: Header=BB66_4 Depth=1
	s_andn2_b64 vcc, exec, s[76:77]
	s_cbranch_vccnz .LBB66_86
; %bb.80:                               ;   in Loop: Header=BB66_4 Depth=1
	s_and_saveexec_b64 s[76:77], s[2:3]
	s_cbranch_execz .LBB66_85
; %bb.81:                               ;   in Loop: Header=BB66_4 Depth=1
	v_mov_b32_e32 v0, s42
	v_add_co_u32_e32 v5, vcc, s43, v32
	v_addc_co_u32_e32 v6, vcc, v33, v0, vcc
	s_mov_b64 s[78:79], 0
	v_mov_b32_e32 v11, v4
	s_branch .LBB66_83
.LBB66_82:                              ;   in Loop: Header=BB66_83 Depth=2
	v_add_u32_e32 v11, s58, v11
	v_cmp_le_i32_e32 vcc, s90, v11
	s_waitcnt vmcnt(0)
	global_store_dwordx4 v[7:8], v[0:3], off
	s_or_b64 s[78:79], vcc, s[78:79]
	v_mov_b32_e32 v0, s69
	v_add_co_u32_e32 v5, vcc, s68, v5
	v_addc_co_u32_e32 v6, vcc, v6, v0, vcc
	s_andn2_b64 exec, exec, s[78:79]
	s_cbranch_execz .LBB66_85
.LBB66_83:                              ;   Parent Loop BB66_4 Depth=1
                                        ; =>  This Loop Header: Depth=2
                                        ;       Child Loop BB66_84 Depth 3
	v_mad_i64_i32 v[0:1], s[40:41], v11, s24, 0
	v_mov_b32_e32 v2, s51
	v_mov_b32_e32 v10, v6
	v_lshlrev_b64 v[0:1], 4, v[0:1]
	v_mov_b32_e32 v9, v5
	v_add_co_u32_e32 v7, vcc, s45, v0
	v_addc_co_u32_e32 v8, vcc, v2, v1, vcc
	global_load_dwordx4 v[0:3], v[7:8], off
	s_andn2_b64 vcc, exec, s[56:57]
	s_mov_b64 s[80:81], s[74:75]
	s_mov_b64 s[82:83], s[72:73]
	s_mov_b32 s18, s44
	s_cbranch_vccnz .LBB66_82
.LBB66_84:                              ;   Parent Loop BB66_4 Depth=1
                                        ;     Parent Loop BB66_83 Depth=2
                                        ; =>    This Inner Loop Header: Depth=3
	global_load_dwordx2 v[39:40], v38, s[80:81]
	global_load_dwordx4 v[12:15], v[9:10], off offset:-8
	global_load_dwordx2 v[41:42], v38, s[82:83]
	s_add_i32 s18, s18, -1
	s_add_u32 s82, s82, -8
	s_addc_u32 s83, s83, -1
	s_add_u32 s80, s80, -8
	s_addc_u32 s81, s81, -1
	s_cmp_lt_u32 s18, 3
	s_waitcnt vmcnt(2)
	v_mul_f64 v[43:44], v[0:1], v[39:40]
	v_mul_f64 v[45:46], v[2:3], v[39:40]
	s_waitcnt vmcnt(1)
	v_mul_f64 v[47:48], v[39:40], v[12:13]
	v_mul_f64 v[39:40], v[39:40], v[14:15]
	s_waitcnt vmcnt(0)
	v_fma_f64 v[12:13], v[41:42], v[12:13], -v[43:44]
	v_fma_f64 v[14:15], v[41:42], v[14:15], -v[45:46]
	v_fma_f64 v[0:1], v[0:1], v[41:42], v[47:48]
	v_fma_f64 v[2:3], v[2:3], v[41:42], v[39:40]
	global_store_dwordx4 v[9:10], v[12:15], off offset:-8
	v_add_co_u32_e32 v9, vcc, -16, v9
	v_addc_co_u32_e32 v10, vcc, -1, v10, vcc
	s_cbranch_scc0 .LBB66_84
	s_branch .LBB66_82
.LBB66_85:                              ;   in Loop: Header=BB66_4 Depth=1
	s_or_b64 exec, exec, s[76:77]
.LBB66_86:                              ;   in Loop: Header=BB66_4 Depth=1
	s_mov_b64 s[76:77], 0
.LBB66_87:                              ;   in Loop: Header=BB66_4 Depth=1
	s_andn2_b64 vcc, exec, s[76:77]
	s_cbranch_vccnz .LBB66_94
; %bb.88:                               ;   in Loop: Header=BB66_4 Depth=1
	s_and_saveexec_b64 s[76:77], s[2:3]
	s_cbranch_execz .LBB66_93
; %bb.89:                               ;   in Loop: Header=BB66_4 Depth=1
	v_mov_b32_e32 v0, s42
	v_add_co_u32_e32 v5, vcc, s43, v34
	v_addc_co_u32_e32 v6, vcc, v35, v0, vcc
	s_mov_b64 s[78:79], 0
	v_mov_b32_e32 v11, v4
	s_branch .LBB66_91
.LBB66_90:                              ;   in Loop: Header=BB66_91 Depth=2
	v_add_u32_e32 v11, s58, v11
	v_cmp_le_i32_e32 vcc, s90, v11
	s_waitcnt vmcnt(0)
	global_store_dwordx4 v[7:8], v[0:3], off
	s_or_b64 s[78:79], vcc, s[78:79]
	v_mov_b32_e32 v0, s69
	v_add_co_u32_e32 v5, vcc, s68, v5
	v_addc_co_u32_e32 v6, vcc, v6, v0, vcc
	s_andn2_b64 exec, exec, s[78:79]
	s_cbranch_execz .LBB66_93
.LBB66_91:                              ;   Parent Loop BB66_4 Depth=1
                                        ; =>  This Loop Header: Depth=2
                                        ;       Child Loop BB66_92 Depth 3
	v_mad_i64_i32 v[0:1], s[40:41], v11, s24, 0
	v_mov_b32_e32 v2, s51
	v_mov_b32_e32 v10, v6
	v_lshlrev_b64 v[0:1], 4, v[0:1]
	v_mov_b32_e32 v9, v5
	v_add_co_u32_e32 v7, vcc, s45, v0
	v_addc_co_u32_e32 v8, vcc, v2, v1, vcc
	global_load_dwordx4 v[0:3], v[7:8], off
	s_andn2_b64 vcc, exec, s[56:57]
	s_mov_b32 s18, s50
	s_mov_b64 s[80:81], s[70:71]
	s_mov_b64 s[82:83], s[20:21]
	s_cbranch_vccnz .LBB66_90
.LBB66_92:                              ;   Parent Loop BB66_4 Depth=1
                                        ;     Parent Loop BB66_91 Depth=2
                                        ; =>    This Inner Loop Header: Depth=3
	global_load_dwordx2 v[39:40], v38, s[82:83]
	global_load_dwordx4 v[12:15], v[9:10], off
	global_load_dwordx2 v[41:42], v38, s[80:81]
	s_add_u32 s82, s82, 8
	s_addc_u32 s83, s83, 0
	s_add_u32 s80, s80, 8
	s_addc_u32 s81, s81, 0
	s_add_i32 s18, s18, -1
	s_cmp_eq_u32 s18, 0
	s_waitcnt vmcnt(2)
	v_mul_f64 v[43:44], v[0:1], v[39:40]
	v_mul_f64 v[45:46], v[2:3], v[39:40]
	s_waitcnt vmcnt(1)
	v_mul_f64 v[47:48], v[39:40], v[12:13]
	v_mul_f64 v[39:40], v[39:40], v[14:15]
	s_waitcnt vmcnt(0)
	v_fma_f64 v[12:13], v[41:42], v[12:13], -v[43:44]
	v_fma_f64 v[14:15], v[41:42], v[14:15], -v[45:46]
	v_fma_f64 v[0:1], v[0:1], v[41:42], v[47:48]
	v_fma_f64 v[2:3], v[2:3], v[41:42], v[39:40]
	global_store_dwordx4 v[9:10], v[12:15], off
	v_add_co_u32_e32 v9, vcc, 16, v9
	v_addc_co_u32_e32 v10, vcc, 0, v10, vcc
	s_cbranch_scc0 .LBB66_92
	s_branch .LBB66_90
.LBB66_93:                              ;   in Loop: Header=BB66_4 Depth=1
	s_or_b64 exec, exec, s[76:77]
.LBB66_94:                              ;   in Loop: Header=BB66_4 Depth=1
	s_mov_b64 s[76:77], 0
.LBB66_95:                              ;   in Loop: Header=BB66_4 Depth=1
	s_andn2_b64 vcc, exec, s[76:77]
	s_cbranch_vccnz .LBB66_102
; %bb.96:                               ;   in Loop: Header=BB66_4 Depth=1
	s_and_saveexec_b64 s[76:77], s[2:3]
	s_cbranch_execz .LBB66_101
; %bb.97:                               ;   in Loop: Header=BB66_4 Depth=1
	s_lshl_b64 s[40:41], s[54:55], 4
	v_mov_b32_e32 v0, s42
	v_add_co_u32_e32 v5, vcc, s43, v26
	s_add_u32 s40, s45, s40
	v_addc_co_u32_e32 v6, vcc, v27, v0, vcc
	s_addc_u32 s41, s51, s41
	s_mov_b64 s[78:79], 0
	v_mov_b32_e32 v11, v4
	s_branch .LBB66_99
.LBB66_98:                              ;   in Loop: Header=BB66_99 Depth=2
	v_mov_b32_e32 v9, s51
	v_add_co_u32_e32 v7, vcc, s45, v7
	v_addc_co_u32_e32 v8, vcc, v9, v8, vcc
	v_add_u32_e32 v11, s58, v11
	v_cmp_le_i32_e32 vcc, s90, v11
	s_waitcnt vmcnt(0)
	global_store_dwordx4 v[7:8], v[0:3], off
	s_or_b64 s[78:79], vcc, s[78:79]
	v_mov_b32_e32 v0, s69
	v_add_co_u32_e32 v5, vcc, s68, v5
	v_addc_co_u32_e32 v6, vcc, v6, v0, vcc
	s_andn2_b64 exec, exec, s[78:79]
	s_cbranch_execz .LBB66_101
.LBB66_99:                              ;   Parent Loop BB66_4 Depth=1
                                        ; =>  This Loop Header: Depth=2
                                        ;       Child Loop BB66_100 Depth 3
	v_mad_i64_i32 v[0:1], s[80:81], v11, s24, 0
	v_mov_b32_e32 v2, s41
	v_mov_b32_e32 v10, v6
	v_lshlrev_b64 v[7:8], 4, v[0:1]
	v_mov_b32_e32 v9, v5
	v_add_co_u32_e32 v0, vcc, s40, v7
	v_addc_co_u32_e32 v1, vcc, v2, v8, vcc
	global_load_dwordx4 v[0:3], v[0:1], off offset:-16
	s_andn2_b64 vcc, exec, s[56:57]
	s_mov_b64 s[80:81], s[74:75]
	s_mov_b64 s[82:83], s[72:73]
	s_mov_b32 s18, s50
	s_cbranch_vccnz .LBB66_98
.LBB66_100:                             ;   Parent Loop BB66_4 Depth=1
                                        ;     Parent Loop BB66_99 Depth=2
                                        ; =>    This Inner Loop Header: Depth=3
	global_load_dwordx4 v[12:15], v[9:10], off
	global_load_dwordx2 v[39:40], v38, s[80:81]
	global_load_dwordx2 v[41:42], v38, s[82:83]
	s_add_i32 s18, s18, -1
	s_add_u32 s82, s82, -8
	s_addc_u32 s83, s83, -1
	s_add_u32 s80, s80, -8
	s_addc_u32 s81, s81, -1
	s_cmp_eq_u32 s18, 0
	s_waitcnt vmcnt(1)
	v_mul_f64 v[43:44], v[39:40], v[12:13]
	v_mul_f64 v[45:46], v[39:40], v[14:15]
	s_waitcnt vmcnt(0)
	v_mul_f64 v[47:48], v[41:42], v[12:13]
	v_mul_f64 v[49:50], v[41:42], v[14:15]
	v_fma_f64 v[12:13], v[0:1], v[41:42], -v[43:44]
	v_fma_f64 v[14:15], v[2:3], v[41:42], -v[45:46]
	v_fma_f64 v[0:1], v[0:1], v[39:40], v[47:48]
	v_fma_f64 v[2:3], v[2:3], v[39:40], v[49:50]
	global_store_dwordx4 v[9:10], v[12:15], off offset:16
	v_add_co_u32_e32 v9, vcc, -16, v9
	v_addc_co_u32_e32 v10, vcc, -1, v10, vcc
	s_cbranch_scc0 .LBB66_100
	s_branch .LBB66_98
.LBB66_101:                             ;   in Loop: Header=BB66_4 Depth=1
	s_or_b64 exec, exec, s[76:77]
.LBB66_102:                             ;   in Loop: Header=BB66_4 Depth=1
	s_cbranch_execnz .LBB66_3
.LBB66_103:                             ;   in Loop: Header=BB66_4 Depth=1
	s_and_saveexec_b64 s[72:73], s[2:3]
	s_cbranch_execz .LBB66_2
; %bb.104:                              ;   in Loop: Header=BB66_4 Depth=1
	s_lshl_b64 s[40:41], s[54:55], 4
	v_mov_b32_e32 v0, s42
	v_add_co_u32_e32 v5, vcc, s43, v36
	s_add_u32 s40, s45, s40
	v_addc_co_u32_e32 v6, vcc, v37, v0, vcc
	s_addc_u32 s41, s51, s41
	s_mov_b64 s[74:75], 0
	v_mov_b32_e32 v11, v4
	s_branch .LBB66_106
.LBB66_105:                             ;   in Loop: Header=BB66_106 Depth=2
	v_mov_b32_e32 v9, s41
	v_add_co_u32_e32 v7, vcc, s40, v7
	v_addc_co_u32_e32 v8, vcc, v9, v8, vcc
	v_add_u32_e32 v11, s58, v11
	v_cmp_le_i32_e32 vcc, s90, v11
	s_waitcnt vmcnt(0)
	global_store_dwordx4 v[7:8], v[0:3], off offset:-16
	s_or_b64 s[74:75], vcc, s[74:75]
	v_mov_b32_e32 v0, s69
	v_add_co_u32_e32 v5, vcc, s68, v5
	v_addc_co_u32_e32 v6, vcc, v6, v0, vcc
	s_andn2_b64 exec, exec, s[74:75]
	s_cbranch_execz .LBB66_2
.LBB66_106:                             ;   Parent Loop BB66_4 Depth=1
                                        ; =>  This Loop Header: Depth=2
                                        ;       Child Loop BB66_107 Depth 3
	v_mad_i64_i32 v[0:1], s[42:43], v11, s24, 0
	v_mov_b32_e32 v2, s51
	v_mov_b32_e32 v10, v6
	v_lshlrev_b64 v[7:8], 4, v[0:1]
	v_mov_b32_e32 v9, v5
	v_add_co_u32_e32 v0, vcc, s45, v7
	v_addc_co_u32_e32 v1, vcc, v2, v8, vcc
	global_load_dwordx4 v[0:3], v[0:1], off
	s_andn2_b64 vcc, exec, s[56:57]
	s_mov_b64 s[76:77], s[70:71]
	s_mov_b64 s[78:79], s[20:21]
	s_mov_b32 s18, s50
	s_cbranch_vccnz .LBB66_105
.LBB66_107:                             ;   Parent Loop BB66_4 Depth=1
                                        ;     Parent Loop BB66_106 Depth=2
                                        ; =>    This Inner Loop Header: Depth=3
	global_load_dwordx4 v[12:15], v[9:10], off offset:-8
	global_load_dwordx2 v[39:40], v38, s[78:79]
	global_load_dwordx2 v[43:44], v38, s[76:77]
	s_add_i32 s18, s18, -1
	s_add_u32 s78, s78, 8
	s_addc_u32 s79, s79, 0
	s_add_u32 s76, s76, 8
	s_addc_u32 s77, s77, 0
	s_cmp_eq_u32 s18, 0
	s_waitcnt vmcnt(1)
	v_mul_f64 v[41:42], v[39:40], v[12:13]
	v_mul_f64 v[45:46], v[39:40], v[14:15]
	;; [unrolled: 1-line block ×4, first 2 shown]
	s_waitcnt vmcnt(0)
	v_fma_f64 v[39:40], v[0:1], v[43:44], v[41:42]
	v_fma_f64 v[41:42], v[2:3], v[43:44], v[45:46]
	v_fma_f64 v[0:1], v[43:44], v[12:13], -v[47:48]
	v_fma_f64 v[2:3], v[43:44], v[14:15], -v[49:50]
	global_store_dwordx4 v[9:10], v[39:42], off offset:-24
	v_add_co_u32_e32 v9, vcc, 16, v9
	v_addc_co_u32_e32 v10, vcc, 0, v10, vcc
	s_cbranch_scc0 .LBB66_107
	s_branch .LBB66_105
.LBB66_108:
	s_endpgm
	.section	.rodata,"a",@progbits
	.p2align	6, 0x0
	.amdhsa_kernel _ZN9rocsolver6v33100L11lasr_kernelI19rocblas_complex_numIdEdPS3_iEEv13rocblas_side_14rocblas_pivot_15rocblas_direct_T2_S8_PT0_lSA_lT1_lS8_lS8_
		.amdhsa_group_segment_fixed_size 0
		.amdhsa_private_segment_fixed_size 0
		.amdhsa_kernarg_size 352
		.amdhsa_user_sgpr_count 6
		.amdhsa_user_sgpr_private_segment_buffer 1
		.amdhsa_user_sgpr_dispatch_ptr 0
		.amdhsa_user_sgpr_queue_ptr 0
		.amdhsa_user_sgpr_kernarg_segment_ptr 1
		.amdhsa_user_sgpr_dispatch_id 0
		.amdhsa_user_sgpr_flat_scratch_init 0
		.amdhsa_user_sgpr_private_segment_size 0
		.amdhsa_uses_dynamic_stack 0
		.amdhsa_system_sgpr_private_segment_wavefront_offset 0
		.amdhsa_system_sgpr_workgroup_id_x 1
		.amdhsa_system_sgpr_workgroup_id_y 0
		.amdhsa_system_sgpr_workgroup_id_z 1
		.amdhsa_system_sgpr_workgroup_info 0
		.amdhsa_system_vgpr_workitem_id 0
		.amdhsa_next_free_vgpr 57
		.amdhsa_next_free_sgpr 96
		.amdhsa_reserve_vcc 1
		.amdhsa_reserve_flat_scratch 0
		.amdhsa_float_round_mode_32 0
		.amdhsa_float_round_mode_16_64 0
		.amdhsa_float_denorm_mode_32 3
		.amdhsa_float_denorm_mode_16_64 3
		.amdhsa_dx10_clamp 1
		.amdhsa_ieee_mode 1
		.amdhsa_fp16_overflow 0
		.amdhsa_exception_fp_ieee_invalid_op 0
		.amdhsa_exception_fp_denorm_src 0
		.amdhsa_exception_fp_ieee_div_zero 0
		.amdhsa_exception_fp_ieee_overflow 0
		.amdhsa_exception_fp_ieee_underflow 0
		.amdhsa_exception_fp_ieee_inexact 0
		.amdhsa_exception_int_div_zero 0
	.end_amdhsa_kernel
	.section	.text._ZN9rocsolver6v33100L11lasr_kernelI19rocblas_complex_numIdEdPS3_iEEv13rocblas_side_14rocblas_pivot_15rocblas_direct_T2_S8_PT0_lSA_lT1_lS8_lS8_,"axG",@progbits,_ZN9rocsolver6v33100L11lasr_kernelI19rocblas_complex_numIdEdPS3_iEEv13rocblas_side_14rocblas_pivot_15rocblas_direct_T2_S8_PT0_lSA_lT1_lS8_lS8_,comdat
.Lfunc_end66:
	.size	_ZN9rocsolver6v33100L11lasr_kernelI19rocblas_complex_numIdEdPS3_iEEv13rocblas_side_14rocblas_pivot_15rocblas_direct_T2_S8_PT0_lSA_lT1_lS8_lS8_, .Lfunc_end66-_ZN9rocsolver6v33100L11lasr_kernelI19rocblas_complex_numIdEdPS3_iEEv13rocblas_side_14rocblas_pivot_15rocblas_direct_T2_S8_PT0_lSA_lT1_lS8_lS8_
                                        ; -- End function
	.set _ZN9rocsolver6v33100L11lasr_kernelI19rocblas_complex_numIdEdPS3_iEEv13rocblas_side_14rocblas_pivot_15rocblas_direct_T2_S8_PT0_lSA_lT1_lS8_lS8_.num_vgpr, 57
	.set _ZN9rocsolver6v33100L11lasr_kernelI19rocblas_complex_numIdEdPS3_iEEv13rocblas_side_14rocblas_pivot_15rocblas_direct_T2_S8_PT0_lSA_lT1_lS8_lS8_.num_agpr, 0
	.set _ZN9rocsolver6v33100L11lasr_kernelI19rocblas_complex_numIdEdPS3_iEEv13rocblas_side_14rocblas_pivot_15rocblas_direct_T2_S8_PT0_lSA_lT1_lS8_lS8_.numbered_sgpr, 96
	.set _ZN9rocsolver6v33100L11lasr_kernelI19rocblas_complex_numIdEdPS3_iEEv13rocblas_side_14rocblas_pivot_15rocblas_direct_T2_S8_PT0_lSA_lT1_lS8_lS8_.num_named_barrier, 0
	.set _ZN9rocsolver6v33100L11lasr_kernelI19rocblas_complex_numIdEdPS3_iEEv13rocblas_side_14rocblas_pivot_15rocblas_direct_T2_S8_PT0_lSA_lT1_lS8_lS8_.private_seg_size, 0
	.set _ZN9rocsolver6v33100L11lasr_kernelI19rocblas_complex_numIdEdPS3_iEEv13rocblas_side_14rocblas_pivot_15rocblas_direct_T2_S8_PT0_lSA_lT1_lS8_lS8_.uses_vcc, 1
	.set _ZN9rocsolver6v33100L11lasr_kernelI19rocblas_complex_numIdEdPS3_iEEv13rocblas_side_14rocblas_pivot_15rocblas_direct_T2_S8_PT0_lSA_lT1_lS8_lS8_.uses_flat_scratch, 0
	.set _ZN9rocsolver6v33100L11lasr_kernelI19rocblas_complex_numIdEdPS3_iEEv13rocblas_side_14rocblas_pivot_15rocblas_direct_T2_S8_PT0_lSA_lT1_lS8_lS8_.has_dyn_sized_stack, 0
	.set _ZN9rocsolver6v33100L11lasr_kernelI19rocblas_complex_numIdEdPS3_iEEv13rocblas_side_14rocblas_pivot_15rocblas_direct_T2_S8_PT0_lSA_lT1_lS8_lS8_.has_recursion, 0
	.set _ZN9rocsolver6v33100L11lasr_kernelI19rocblas_complex_numIdEdPS3_iEEv13rocblas_side_14rocblas_pivot_15rocblas_direct_T2_S8_PT0_lSA_lT1_lS8_lS8_.has_indirect_call, 0
	.section	.AMDGPU.csdata,"",@progbits
; Kernel info:
; codeLenInByte = 5004
; TotalNumSgprs: 100
; NumVgprs: 57
; ScratchSize: 0
; MemoryBound: 0
; FloatMode: 240
; IeeeMode: 1
; LDSByteSize: 0 bytes/workgroup (compile time only)
; SGPRBlocks: 12
; VGPRBlocks: 14
; NumSGPRsForWavesPerEU: 100
; NumVGPRsForWavesPerEU: 57
; Occupancy: 4
; WaveLimiterHint : 0
; COMPUTE_PGM_RSRC2:SCRATCH_EN: 0
; COMPUTE_PGM_RSRC2:USER_SGPR: 6
; COMPUTE_PGM_RSRC2:TRAP_HANDLER: 0
; COMPUTE_PGM_RSRC2:TGID_X_EN: 1
; COMPUTE_PGM_RSRC2:TGID_Y_EN: 0
; COMPUTE_PGM_RSRC2:TGID_Z_EN: 1
; COMPUTE_PGM_RSRC2:TIDIG_COMP_CNT: 0
	.section	.text._ZN9rocsolver6v33100L11swap_kernelI19rocblas_complex_numIdEiEEvT0_PT_S4_S6_S4_,"axG",@progbits,_ZN9rocsolver6v33100L11swap_kernelI19rocblas_complex_numIdEiEEvT0_PT_S4_S6_S4_,comdat
	.globl	_ZN9rocsolver6v33100L11swap_kernelI19rocblas_complex_numIdEiEEvT0_PT_S4_S6_S4_ ; -- Begin function _ZN9rocsolver6v33100L11swap_kernelI19rocblas_complex_numIdEiEEvT0_PT_S4_S6_S4_
	.p2align	8
	.type	_ZN9rocsolver6v33100L11swap_kernelI19rocblas_complex_numIdEiEEvT0_PT_S4_S6_S4_,@function
_ZN9rocsolver6v33100L11swap_kernelI19rocblas_complex_numIdEiEEvT0_PT_S4_S6_S4_: ; @_ZN9rocsolver6v33100L11swap_kernelI19rocblas_complex_numIdEiEEvT0_PT_S4_S6_S4_
; %bb.0:
	s_load_dword s16, s[6:7], 0x0
	s_waitcnt lgkmcnt(0)
	s_cmp_lt_i32 s16, 1
	s_cbranch_scc1 .LBB67_10
; %bb.1:
	s_load_dwordx2 s[0:1], s[4:5], 0x4
	s_load_dword s9, s[6:7], 0x28
	s_load_dword s11, s[6:7], 0x34
	s_load_dwordx2 s[2:3], s[6:7], 0x8
	s_load_dword s12, s[6:7], 0x10
	s_nop 0
	s_load_dwordx2 s[4:5], s[6:7], 0x18
	s_load_dword s10, s[6:7], 0x20
	s_waitcnt lgkmcnt(0)
	s_lshr_b32 s0, s0, 16
	s_mul_i32 s0, s0, s1
	v_mul_lo_u32 v3, s0, v0
	s_and_b32 s0, s11, 0xffff
	s_cmp_eq_u32 s12, 1
	v_mul_u32_u24_e32 v1, s1, v1
	s_mul_i32 s8, s8, s0
	s_mul_i32 s6, s9, s0
	s_cselect_b64 s[0:1], -1, 0
	s_cmp_eq_u32 s10, 1
	v_add_u32_e32 v0, s8, v0
	s_cselect_b64 s[8:9], -1, 0
	s_and_b64 s[14:15], s[0:1], s[8:9]
	v_add3_u32 v5, v3, v1, v2
	v_cmp_gt_i32_e64 s[0:1], s16, v0
	s_mov_b64 s[8:9], -1
	s_and_b64 vcc, exec, s[14:15]
	s_cbranch_vccnz .LBB67_6
; %bb.2:
	s_and_saveexec_b64 s[8:9], s[0:1]
	s_cbranch_execz .LBB67_5
; %bb.3:
	v_mad_i64_i32 v[1:2], s[14:15], s10, v0, 0
	v_mov_b32_e32 v3, s5
	s_mul_hi_i32 s11, s10, s6
	v_lshlrev_b64 v[1:2], 4, v[1:2]
	s_mul_i32 s10, s10, s6
	v_add_co_u32_e32 v1, vcc, s4, v1
	v_addc_co_u32_e32 v2, vcc, v3, v2, vcc
	v_mad_i64_i32 v[3:4], s[14:15], s12, v0, 0
	s_mul_hi_i32 s13, s12, s6
	s_mul_i32 s12, s12, s6
	v_lshlrev_b64 v[3:4], 4, v[3:4]
	s_lshl_b64 s[10:11], s[10:11], 4
	v_mov_b32_e32 v7, s3
	v_add_co_u32_e32 v3, vcc, s2, v3
	s_lshl_b64 s[12:13], s[12:13], 4
	v_lshlrev_b32_e32 v6, 4, v5
	v_addc_co_u32_e32 v4, vcc, v7, v4, vcc
	s_mov_b64 s[14:15], 0
	v_mov_b32_e32 v7, s11
	v_mov_b32_e32 v8, s13
	;; [unrolled: 1-line block ×3, first 2 shown]
.LBB67_4:                               ; =>This Inner Loop Header: Depth=1
	global_load_dwordx4 v[10:13], v[1:2], off
	global_load_dwordx4 v[14:17], v[3:4], off
	v_add_u32_e32 v9, s6, v9
	v_cmp_le_i32_e32 vcc, s16, v9
	s_or_b64 s[14:15], vcc, s[14:15]
	s_waitcnt vmcnt(1)
	ds_write2_b64 v6, v[10:11], v[12:13] offset1:1
	s_waitcnt vmcnt(0)
	global_store_dwordx4 v[1:2], v[14:17], off
	global_store_dwordx4 v[3:4], v[10:13], off
	v_add_co_u32_e32 v1, vcc, s10, v1
	v_addc_co_u32_e32 v2, vcc, v2, v7, vcc
	v_add_co_u32_e32 v3, vcc, s12, v3
	v_addc_co_u32_e32 v4, vcc, v4, v8, vcc
	s_andn2_b64 exec, exec, s[14:15]
	s_cbranch_execnz .LBB67_4
.LBB67_5:
	s_or_b64 exec, exec, s[8:9]
	s_mov_b64 s[8:9], 0
.LBB67_6:
	s_andn2_b64 vcc, exec, s[8:9]
	s_cbranch_vccnz .LBB67_10
; %bb.7:
	s_and_saveexec_b64 s[8:9], s[0:1]
	s_cbranch_execz .LBB67_10
; %bb.8:
	v_mov_b32_e32 v1, 0x4000
	v_lshl_add_u32 v3, v5, 4, v1
	v_ashrrev_i32_e32 v1, 31, v0
	s_ashr_i32 s7, s6, 31
	v_lshlrev_b64 v[1:2], 4, v[0:1]
	s_lshl_b64 s[0:1], s[6:7], 4
	s_mov_b64 s[8:9], 0
	v_mov_b32_e32 v4, s5
	v_mov_b32_e32 v5, s3
	;; [unrolled: 1-line block ×3, first 2 shown]
.LBB67_9:                               ; =>This Inner Loop Header: Depth=1
	v_add_co_u32_e32 v15, vcc, s4, v1
	v_addc_co_u32_e32 v16, vcc, v4, v2, vcc
	v_add_co_u32_e32 v17, vcc, s2, v1
	v_addc_co_u32_e32 v18, vcc, v5, v2, vcc
	global_load_dwordx4 v[7:10], v[15:16], off
	global_load_dwordx4 v[11:14], v[17:18], off
	v_add_co_u32_e32 v1, vcc, s0, v1
	v_add_u32_e32 v0, s6, v0
	v_addc_co_u32_e32 v2, vcc, v2, v6, vcc
	v_cmp_le_i32_e32 vcc, s16, v0
	s_or_b64 s[8:9], vcc, s[8:9]
	s_waitcnt vmcnt(1)
	ds_write2_b64 v3, v[7:8], v[9:10] offset1:1
	s_waitcnt vmcnt(0)
	global_store_dwordx4 v[15:16], v[11:14], off
	global_store_dwordx4 v[17:18], v[7:10], off
	s_andn2_b64 exec, exec, s[8:9]
	s_cbranch_execnz .LBB67_9
.LBB67_10:
	s_endpgm
	.section	.rodata,"a",@progbits
	.p2align	6, 0x0
	.amdhsa_kernel _ZN9rocsolver6v33100L11swap_kernelI19rocblas_complex_numIdEiEEvT0_PT_S4_S6_S4_
		.amdhsa_group_segment_fixed_size 32768
		.amdhsa_private_segment_fixed_size 0
		.amdhsa_kernarg_size 296
		.amdhsa_user_sgpr_count 8
		.amdhsa_user_sgpr_private_segment_buffer 1
		.amdhsa_user_sgpr_dispatch_ptr 1
		.amdhsa_user_sgpr_queue_ptr 0
		.amdhsa_user_sgpr_kernarg_segment_ptr 1
		.amdhsa_user_sgpr_dispatch_id 0
		.amdhsa_user_sgpr_flat_scratch_init 0
		.amdhsa_user_sgpr_private_segment_size 0
		.amdhsa_uses_dynamic_stack 0
		.amdhsa_system_sgpr_private_segment_wavefront_offset 0
		.amdhsa_system_sgpr_workgroup_id_x 1
		.amdhsa_system_sgpr_workgroup_id_y 0
		.amdhsa_system_sgpr_workgroup_id_z 0
		.amdhsa_system_sgpr_workgroup_info 0
		.amdhsa_system_vgpr_workitem_id 2
		.amdhsa_next_free_vgpr 19
		.amdhsa_next_free_sgpr 17
		.amdhsa_reserve_vcc 1
		.amdhsa_reserve_flat_scratch 0
		.amdhsa_float_round_mode_32 0
		.amdhsa_float_round_mode_16_64 0
		.amdhsa_float_denorm_mode_32 3
		.amdhsa_float_denorm_mode_16_64 3
		.amdhsa_dx10_clamp 1
		.amdhsa_ieee_mode 1
		.amdhsa_fp16_overflow 0
		.amdhsa_exception_fp_ieee_invalid_op 0
		.amdhsa_exception_fp_denorm_src 0
		.amdhsa_exception_fp_ieee_div_zero 0
		.amdhsa_exception_fp_ieee_overflow 0
		.amdhsa_exception_fp_ieee_underflow 0
		.amdhsa_exception_fp_ieee_inexact 0
		.amdhsa_exception_int_div_zero 0
	.end_amdhsa_kernel
	.section	.text._ZN9rocsolver6v33100L11swap_kernelI19rocblas_complex_numIdEiEEvT0_PT_S4_S6_S4_,"axG",@progbits,_ZN9rocsolver6v33100L11swap_kernelI19rocblas_complex_numIdEiEEvT0_PT_S4_S6_S4_,comdat
.Lfunc_end67:
	.size	_ZN9rocsolver6v33100L11swap_kernelI19rocblas_complex_numIdEiEEvT0_PT_S4_S6_S4_, .Lfunc_end67-_ZN9rocsolver6v33100L11swap_kernelI19rocblas_complex_numIdEiEEvT0_PT_S4_S6_S4_
                                        ; -- End function
	.set _ZN9rocsolver6v33100L11swap_kernelI19rocblas_complex_numIdEiEEvT0_PT_S4_S6_S4_.num_vgpr, 19
	.set _ZN9rocsolver6v33100L11swap_kernelI19rocblas_complex_numIdEiEEvT0_PT_S4_S6_S4_.num_agpr, 0
	.set _ZN9rocsolver6v33100L11swap_kernelI19rocblas_complex_numIdEiEEvT0_PT_S4_S6_S4_.numbered_sgpr, 17
	.set _ZN9rocsolver6v33100L11swap_kernelI19rocblas_complex_numIdEiEEvT0_PT_S4_S6_S4_.num_named_barrier, 0
	.set _ZN9rocsolver6v33100L11swap_kernelI19rocblas_complex_numIdEiEEvT0_PT_S4_S6_S4_.private_seg_size, 0
	.set _ZN9rocsolver6v33100L11swap_kernelI19rocblas_complex_numIdEiEEvT0_PT_S4_S6_S4_.uses_vcc, 1
	.set _ZN9rocsolver6v33100L11swap_kernelI19rocblas_complex_numIdEiEEvT0_PT_S4_S6_S4_.uses_flat_scratch, 0
	.set _ZN9rocsolver6v33100L11swap_kernelI19rocblas_complex_numIdEiEEvT0_PT_S4_S6_S4_.has_dyn_sized_stack, 0
	.set _ZN9rocsolver6v33100L11swap_kernelI19rocblas_complex_numIdEiEEvT0_PT_S4_S6_S4_.has_recursion, 0
	.set _ZN9rocsolver6v33100L11swap_kernelI19rocblas_complex_numIdEiEEvT0_PT_S4_S6_S4_.has_indirect_call, 0
	.section	.AMDGPU.csdata,"",@progbits
; Kernel info:
; codeLenInByte = 536
; TotalNumSgprs: 21
; NumVgprs: 19
; ScratchSize: 0
; MemoryBound: 0
; FloatMode: 240
; IeeeMode: 1
; LDSByteSize: 32768 bytes/workgroup (compile time only)
; SGPRBlocks: 2
; VGPRBlocks: 4
; NumSGPRsForWavesPerEU: 21
; NumVGPRsForWavesPerEU: 19
; Occupancy: 8
; WaveLimiterHint : 0
; COMPUTE_PGM_RSRC2:SCRATCH_EN: 0
; COMPUTE_PGM_RSRC2:USER_SGPR: 8
; COMPUTE_PGM_RSRC2:TRAP_HANDLER: 0
; COMPUTE_PGM_RSRC2:TGID_X_EN: 1
; COMPUTE_PGM_RSRC2:TGID_Y_EN: 0
; COMPUTE_PGM_RSRC2:TGID_Z_EN: 0
; COMPUTE_PGM_RSRC2:TIDIG_COMP_CNT: 2
	.section	.text._ZN9rocsolver6v33100L12steqr_kernelI19rocblas_complex_numIdEdPS3_EEviPT0_lS6_lT1_iilPiS6_iS5_S5_S5_,"axG",@progbits,_ZN9rocsolver6v33100L12steqr_kernelI19rocblas_complex_numIdEdPS3_EEviPT0_lS6_lT1_iilPiS6_iS5_S5_S5_,comdat
	.globl	_ZN9rocsolver6v33100L12steqr_kernelI19rocblas_complex_numIdEdPS3_EEviPT0_lS6_lT1_iilPiS6_iS5_S5_S5_ ; -- Begin function _ZN9rocsolver6v33100L12steqr_kernelI19rocblas_complex_numIdEdPS3_EEviPT0_lS6_lT1_iilPiS6_iS5_S5_S5_
	.p2align	8
	.type	_ZN9rocsolver6v33100L12steqr_kernelI19rocblas_complex_numIdEdPS3_EEviPT0_lS6_lT1_iilPiS6_iS5_S5_S5_,@function
_ZN9rocsolver6v33100L12steqr_kernelI19rocblas_complex_numIdEdPS3_EEviPT0_lS6_lT1_iilPiS6_iS5_S5_S5_: ; @_ZN9rocsolver6v33100L12steqr_kernelI19rocblas_complex_numIdEdPS3_EEviPT0_lS6_lT1_iilPiS6_iS5_S5_S5_
; %bb.0:
	s_mov_b64 s[98:99], s[2:3]
	s_mov_b64 s[96:97], s[0:1]
	s_add_u32 s96, s96, s10
	s_addc_u32 s97, s97, 0
                                        ; implicit-def: $vgpr63 : SGPR spill to VGPR lane
	buffer_store_dword v2, off, s[96:99], 0 offset:20 ; 4-byte Folded Spill
	buffer_store_dword v1, off, s[96:99], 0 offset:28 ; 4-byte Folded Spill
	v_writelane_b32 v63, s4, 0
	v_writelane_b32 v63, s5, 1
	s_load_dword s0, s[6:7], 0x7c
	s_load_dword s4, s[6:7], 0x70
	s_mov_b32 s38, s9
	buffer_store_dword v0, off, s[96:99], 0 offset:24 ; 4-byte Folded Spill
	s_waitcnt lgkmcnt(0)
	s_and_b32 s5, s0, 0xffff
	s_mul_i32 s8, s8, s5
	v_add_u32_e32 v7, s8, v0
	v_cmp_eq_u32_e64 s[0:1], 0, v7
	s_and_saveexec_b64 s[2:3], s[0:1]
; %bb.1:
	v_mov_b32_e32 v0, 0
	ds_write2_b32 v0, v0, v0 offset0:6 offset1:9
; %bb.2:
	s_or_b64 exec, exec, s[2:3]
	s_load_dword s10, s[6:7], 0x0
	s_load_dwordx8 s[20:27], s[6:7], 0x8
	s_load_dwordx8 s[12:19], s[6:7], 0x28
	s_load_dwordx2 s[52:53], s[6:7], 0x48
	s_load_dword s33, s[6:7], 0x50
	s_ashr_i32 s39, s38, 31
	s_waitcnt lgkmcnt(0)
	s_mul_hi_u32 s2, s22, s38
	s_mul_i32 s3, s22, s39
	s_add_i32 s2, s2, s3
	s_mul_i32 s3, s23, s38
	s_add_i32 s3, s2, s3
	s_mul_i32 s2, s22, s38
	s_lshl_b64 s[34:35], s[2:3], 3
	s_add_u32 s22, s20, s34
	s_mul_hi_u32 s2, s26, s38
	s_mul_i32 s3, s26, s39
	s_addc_u32 s23, s21, s35
	s_add_i32 s2, s2, s3
	s_mul_i32 s3, s27, s38
	s_add_i32 s43, s2, s3
	s_ashr_i32 s3, s14, 31
	s_mov_b32 s2, s14
	v_mov_b32_e32 v9, 0
	v_writelane_b32 v63, s2, 2
	s_waitcnt vmcnt(0)
	s_barrier
	ds_read2_b32 v[1:2], v9 offset0:6 offset1:9
	v_writelane_b32 v63, s3, 3
	s_mul_hi_u32 s2, s16, s38
	s_mul_i32 s3, s16, s39
	s_add_i32 s2, s2, s3
	s_mul_i32 s3, s17, s38
	s_add_i32 s3, s2, s3
	s_mul_i32 s2, s16, s38
	v_writelane_b32 v63, s2, 4
	v_writelane_b32 v63, s3, 5
	s_waitcnt lgkmcnt(0)
	v_cmp_gt_i32_e32 vcc, s10, v1
	v_cmp_gt_i32_e64 s[2:3], s33, v2
	s_and_b64 s[2:3], vcc, s[2:3]
	s_mul_i32 s36, s4, s5
	s_mul_i32 s42, s26, s38
	v_readfirstlane_b32 s8, v1
	s_andn2_b64 vcc, exec, s[2:3]
	s_add_i32 s40, s10, -1
	s_cbranch_vccnz .LBB68_223
; %bb.3:
	s_lshl_b32 s4, s10, 1
	s_lshl_b64 s[2:3], s[42:43], 3
	s_add_u32 s14, s24, s2
	s_addc_u32 s92, s25, s3
	v_readlane_b32 s2, v63, 4
	v_readlane_b32 s3, v63, 5
	s_load_dwordx4 s[28:31], s[6:7], 0x58
	s_load_dwordx2 s[44:45], s[6:7], 0x68
	s_lshl_b64 s[6:7], s[2:3], 4
	v_readlane_b32 s16, v63, 2
	s_add_u32 s2, s12, s6
	v_readlane_b32 s17, v63, 3
	s_addc_u32 s3, s13, s7
	s_lshl_b64 s[26:27], s[16:17], 4
	s_add_u32 s93, s2, s26
	s_addc_u32 s94, s3, s27
	s_mul_hi_i32 s3, s4, s38
	s_mul_i32 s2, s4, s38
	s_lshl_b64 s[56:57], s[2:3], 3
	s_add_u32 s95, s52, s56
	s_addc_u32 s66, s53, s57
	s_ashr_i32 s11, s10, 31
	s_ashr_i32 s47, s15, 31
	s_add_u32 s67, s20, s34
	s_addc_u32 s4, s21, s35
	s_add_u32 s5, s67, 8
	s_addc_u32 s54, s4, 0
	s_ashr_i32 s37, s36, 31
	s_lshl_b64 s[48:49], s[36:37], 3
	s_lshl_b64 s[50:51], s[10:11], 3
	s_add_u32 s9, s56, s50
	s_addc_u32 s11, s57, s51
	s_add_u32 s9, s52, s9
	s_addc_u32 s11, s53, s11
	s_add_u32 s16, s9, -16
	s_addc_u32 s17, s11, -1
	v_writelane_b32 v63, s16, 6
	v_writelane_b32 v63, s17, 7
	s_add_u32 s16, s95, -8
	s_addc_u32 s17, s66, -1
	s_add_u32 s56, s14, -8
	s_addc_u32 s57, s92, -1
	;; [unrolled: 2-line block ×3, first 2 shown]
	s_add_u32 s6, s6, s26
	s_waitcnt lgkmcnt(0)
	v_mul_f64 v[11:12], s[28:29], s[28:29]
	s_addc_u32 s7, s7, s27
	v_ashrrev_i32_e32 v8, 31, v7
	v_lshlrev_b64 v[1:2], 4, v[7:8]
	s_add_u32 s6, s12, s6
	s_mov_b32 s46, s15
	s_addc_u32 s7, s13, s7
	v_mov_b32_e32 v0, s7
	v_add_co_u32_e32 v1, vcc, s6, v1
	s_lshl_b64 s[58:59], s[46:47], 4
	s_lshl_b64 s[60:61], s[36:37], 4
	v_addc_co_u32_e32 v0, vcc, v0, v2, vcc
	s_sub_u32 s37, 0, s58
	v_add_co_u32_e32 v8, vcc, 8, v1
	s_subb_u32 s52, 0, s59
	v_writelane_b32 v63, s16, 8
	v_addc_co_u32_e32 v58, vcc, 0, v0, vcc
	s_add_u32 s53, s67, -8
	s_mov_b32 s64, 0
	s_mov_b32 s84, 0x667f3bcd
                                        ; implicit-def: $vgpr0
	v_cmp_gt_i32_e64 s[2:3], s10, v7
	v_writelane_b32 v63, s17, 9
	s_addc_u32 s26, s4, -1
	s_mov_b32 s63, 0
	s_brev_b32 s65, 8
	v_mov_b32_e32 v59, 0x260
	s_mov_b32 s85, 0x3ff6a09e
	v_mov_b32_e32 v60, 0x100
	v_mov_b32_e32 v61, 0xffffff80
                                        ; kill: killed $vgpr0
                                        ; implicit-def: $vgpr0_vgpr1
                                        ; implicit-def: $vgpr2
                                        ; implicit-def: $vgpr21_vgpr22
                                        ; implicit-def: $vgpr23_vgpr24
                                        ; implicit-def: $vgpr25_vgpr26
                                        ; implicit-def: $vgpr13_vgpr14
                                        ; implicit-def: $vgpr62
                                        ; implicit-def: $vgpr19_vgpr20
                                        ; kill: killed $vgpr0_vgpr1
                                        ; implicit-def: $vgpr0_vgpr1
                                        ; kill: killed $vgpr0_vgpr1
	s_branch .LBB68_7
.LBB68_4:                               ;   in Loop: Header=BB68_7 Depth=1
	s_or_b64 exec, exec, s[6:7]
.LBB68_5:                               ;   in Loop: Header=BB68_7 Depth=1
	s_waitcnt vmcnt(0)
	s_barrier
.LBB68_6:                               ;   in Loop: Header=BB68_7 Depth=1
	ds_read2_b32 v[0:1], v9 offset0:6 offset1:9
	s_waitcnt lgkmcnt(0)
	v_cmp_gt_i32_e32 vcc, s10, v0
	v_cmp_gt_i32_e64 s[6:7], s33, v1
	s_and_b64 s[6:7], vcc, s[6:7]
	s_andn2_b64 vcc, exec, s[6:7]
	v_readfirstlane_b32 s8, v0
	s_cbranch_vccnz .LBB68_223
.LBB68_7:                               ; =>This Loop Header: Depth=1
                                        ;     Child Loop BB68_15 Depth 2
                                        ;     Child Loop BB68_28 Depth 2
	;; [unrolled: 1-line block ×5, first 2 shown]
                                        ;       Child Loop BB68_61 Depth 3
                                        ;       Child Loop BB68_81 Depth 3
	;; [unrolled: 1-line block ×3, first 2 shown]
                                        ;         Child Loop BB68_129 Depth 4
                                        ;     Child Loop BB68_133 Depth 2
                                        ;       Child Loop BB68_139 Depth 3
                                        ;       Child Loop BB68_159 Depth 3
                                        ;       Child Loop BB68_206 Depth 3
                                        ;         Child Loop BB68_207 Depth 4
                                        ;     Child Loop BB68_215 Depth 2
                                        ;     Child Loop BB68_222 Depth 2
	s_and_saveexec_b64 s[68:69], s[0:1]
	s_cbranch_execz .LBB68_31
; %bb.8:                                ;   in Loop: Header=BB68_7 Depth=1
	s_cmp_lt_i32 s8, 1
	s_cbranch_scc1 .LBB68_10
; %bb.9:                                ;   in Loop: Header=BB68_7 Depth=1
	s_mov_b32 s9, s63
	s_lshl_b64 s[6:7], s[8:9], 3
	s_add_u32 s6, s14, s6
	s_addc_u32 s7, s92, s7
	v_mov_b32_e32 v10, v9
	global_store_dwordx2 v9, v[9:10], s[6:7] offset:-8
.LBB68_10:                              ;   in Loop: Header=BB68_7 Depth=1
	s_mov_b64 s[70:71], -1
	s_mov_b64 s[74:75], 0
	s_cmp_lt_i32 s8, s40
	s_mov_b64 s[6:7], 0
	s_cbranch_scc1 .LBB68_12
; %bb.11:                               ;   in Loop: Header=BB68_7 Depth=1
	s_ashr_i32 s9, s8, 31
	s_mov_b64 s[70:71], 0
	s_mov_b64 s[6:7], -1
.LBB68_12:                              ;   in Loop: Header=BB68_7 Depth=1
	s_andn2_b64 vcc, exec, s[70:71]
	s_cbranch_vccnz .LBB68_17
; %bb.13:                               ;   in Loop: Header=BB68_7 Depth=1
	s_ashr_i32 s9, s8, 31
	s_lshl_b64 s[70:71], s[8:9], 3
	s_add_u32 s76, s14, s70
	s_addc_u32 s77, s92, s71
	s_add_u32 s74, s5, s70
	s_addc_u32 s75, s54, s71
	s_mov_b64 s[78:79], s[8:9]
	s_branch .LBB68_15
.LBB68_14:                              ;   in Loop: Header=BB68_15 Depth=2
	s_andn2_b64 vcc, exec, s[82:83]
	s_cbranch_vccz .LBB68_18
.LBB68_15:                              ;   Parent Loop BB68_7 Depth=1
                                        ; =>  This Inner Loop Header: Depth=2
	s_nop 0
	global_load_dwordx2 v[21:22], v9, s[76:77]
	global_load_dwordx4 v[2:5], v9, s[74:75] offset:-8
	s_mov_b64 s[70:71], s[76:77]
	s_mov_b64 s[72:73], s[78:79]
	s_mov_b64 s[80:81], -1
	s_mov_b64 s[82:83], -1
                                        ; implicit-def: $sgpr78_sgpr79
	s_waitcnt vmcnt(0)
	v_cmp_lt_f64_e64 s[76:77], |v[2:3]|, s[64:65]
	s_and_b64 s[76:77], s[76:77], exec
	s_cselect_b32 s16, 0x100, 0
	v_ldexp_f64 v[2:3], |v[2:3]|, s16
	v_cmp_lt_f64_e64 s[76:77], |v[4:5]|, s[64:65]
	s_cselect_b32 s16, 0xffffff80, 0
	v_rsq_f64_e32 v[23:24], v[2:3]
	s_and_b64 s[76:77], s[76:77], exec
	v_cmp_class_f64_e32 vcc, v[2:3], v59
	v_mul_f64 v[25:26], v[2:3], v[23:24]
	v_mul_f64 v[23:24], v[23:24], 0.5
	v_fma_f64 v[27:28], -v[23:24], v[25:26], 0.5
	v_fma_f64 v[25:26], v[25:26], v[27:28], v[25:26]
	v_fma_f64 v[23:24], v[23:24], v[27:28], v[23:24]
	v_fma_f64 v[29:30], -v[25:26], v[25:26], v[2:3]
	v_fma_f64 v[25:26], v[29:30], v[23:24], v[25:26]
	v_fma_f64 v[27:28], -v[25:26], v[25:26], v[2:3]
	v_fma_f64 v[23:24], v[27:28], v[23:24], v[25:26]
	v_ldexp_f64 v[23:24], v[23:24], s16
	s_cselect_b32 s16, 0x100, 0
	v_ldexp_f64 v[4:5], |v[4:5]|, s16
	s_cselect_b32 s16, 0xffffff80, 0
	v_cndmask_b32_e32 v3, v24, v3, vcc
	v_cndmask_b32_e32 v2, v23, v2, vcc
	v_rsq_f64_e32 v[23:24], v[4:5]
	v_cmp_class_f64_e32 vcc, v[4:5], v59
	v_mul_f64 v[25:26], v[4:5], v[23:24]
	v_mul_f64 v[23:24], v[23:24], 0.5
	v_fma_f64 v[27:28], -v[23:24], v[25:26], 0.5
	v_fma_f64 v[25:26], v[25:26], v[27:28], v[25:26]
	v_fma_f64 v[23:24], v[23:24], v[27:28], v[23:24]
	v_fma_f64 v[29:30], -v[25:26], v[25:26], v[4:5]
	v_fma_f64 v[25:26], v[29:30], v[23:24], v[25:26]
	v_fma_f64 v[27:28], -v[25:26], v[25:26], v[4:5]
	v_fma_f64 v[23:24], v[27:28], v[23:24], v[25:26]
	v_ldexp_f64 v[23:24], v[23:24], s16
	v_cndmask_b32_e32 v5, v24, v5, vcc
	v_cndmask_b32_e32 v4, v23, v4, vcc
	v_mul_f64 v[2:3], v[2:3], v[4:5]
	v_mul_f64 v[2:3], s[28:29], v[2:3]
	v_cmp_nle_f64_e64 s[76:77], |v[21:22]|, v[2:3]
	s_and_b64 vcc, exec, s[76:77]
                                        ; implicit-def: $sgpr76_sgpr77
	s_cbranch_vccz .LBB68_14
; %bb.16:                               ;   in Loop: Header=BB68_15 Depth=2
	s_add_u32 s78, s72, 1
	s_addc_u32 s79, s73, 0
	s_add_u32 s76, s70, 8
	s_addc_u32 s77, s71, 0
	;; [unrolled: 2-line block ×3, first 2 shown]
	s_cmp_ge_i32 s78, s40
	s_mov_b64 s[80:81], 0
	s_cselect_b64 s[82:83], -1, 0
	s_branch .LBB68_14
.LBB68_17:                              ;   in Loop: Header=BB68_7 Depth=1
	s_mov_b32 s27, s8
	s_mov_b64 s[76:77], s[8:9]
	s_and_b64 vcc, exec, s[6:7]
	s_cbranch_vccnz .LBB68_21
	s_branch .LBB68_22
.LBB68_18:                              ;   in Loop: Header=BB68_7 Depth=1
	s_xor_b64 s[16:17], s[80:81], -1
	s_mov_b64 s[74:75], -1
	s_and_b64 vcc, exec, s[16:17]
                                        ; implicit-def: $sgpr76_sgpr77
	s_cbranch_vccz .LBB68_20
; %bb.19:                               ;   in Loop: Header=BB68_7 Depth=1
	s_ashr_i32 s41, s40, 31
	s_mov_b64 s[6:7], -1
	s_mov_b64 s[74:75], 0
	s_mov_b64 s[76:77], s[40:41]
.LBB68_20:                              ;   in Loop: Header=BB68_7 Depth=1
	v_mov_b32_e32 v21, s72
	v_mov_b32_e32 v23, s70
	;; [unrolled: 1-line block ×7, first 2 shown]
	s_mov_b32 s27, s40
	s_and_b64 vcc, exec, s[6:7]
	s_cbranch_vccz .LBB68_22
.LBB68_21:                              ;   in Loop: Header=BB68_7 Depth=1
	v_mov_b32_e32 v0, s27
	ds_write_b32 v9, v0 offset:20
.LBB68_22:                              ;   in Loop: Header=BB68_7 Depth=1
	v_mov_b32_e32 v3, s8
	v_mov_b32_e32 v5, s76
	s_andn2_b64 vcc, exec, s[74:75]
	v_mov_b32_e32 v4, s9
	v_mov_b32_e32 v6, s77
	;; [unrolled: 1-line block ×3, first 2 shown]
	s_cbranch_vccnz .LBB68_24
; %bb.23:                               ;   in Loop: Header=BB68_7 Depth=1
	v_mov_b32_e32 v10, v9
	v_mov_b32_e32 v3, v25
	;; [unrolled: 1-line block ×3, first 2 shown]
	global_store_dwordx2 v[23:24], v[9:10], off
	v_mov_b32_e32 v4, v26
	v_mov_b32_e32 v6, v22
	;; [unrolled: 1-line block ×3, first 2 shown]
	ds_write_b32 v9, v2 offset:20
.LBB68_24:                              ;   in Loop: Header=BB68_7 Depth=1
	v_lshlrev_b64 v[5:6], 3, v[5:6]
	v_mov_b32_e32 v0, s23
	v_add_co_u32_e32 v5, vcc, s22, v5
	v_lshlrev_b64 v[27:28], 3, v[3:4]
	v_addc_co_u32_e32 v6, vcc, v0, v6, vcc
	v_add_co_u32_e32 v29, vcc, s22, v27
	v_addc_co_u32_e32 v30, vcc, v0, v28, vcc
	global_load_dwordx2 v[3:4], v[5:6], off
	s_nop 0
	global_load_dwordx2 v[5:6], v[29:30], off
	s_waitcnt vmcnt(0)
	v_cmp_lt_f64_e64 s[70:71], |v[3:4]|, |v[5:6]|
	v_mov_b32_e32 v6, s8
	v_add_u32_e32 v5, 1, v10
	ds_write_b32 v9, v6 offset:16
	ds_write2_b32 v9, v10, v10 offset0:8 offset1:10
	ds_write_b64 v9, v[5:6] offset:24
	s_and_saveexec_b64 s[6:7], s[70:71]
; %bb.25:                               ;   in Loop: Header=BB68_7 Depth=1
	v_mov_b32_e32 v0, s8
	ds_write2_b32 v9, v10, v0 offset0:4 offset1:8
; %bb.26:                               ;   in Loop: Header=BB68_7 Depth=1
	s_or_b64 exec, exec, s[6:7]
	v_and_b32_e32 v4, 0x7fffffff, v4
	v_cmp_lt_i32_e32 vcc, s8, v10
	s_and_saveexec_b64 s[70:71], vcc
	s_cbranch_execz .LBB68_30
; %bb.27:                               ;   in Loop: Header=BB68_7 Depth=1
	v_mov_b32_e32 v0, s4
	v_add_co_u32_e32 v5, vcc, s67, v27
	v_addc_co_u32_e32 v6, vcc, v0, v28, vcc
	v_mov_b32_e32 v0, s92
	v_add_co_u32_e32 v27, vcc, s14, v27
	v_addc_co_u32_e32 v28, vcc, v0, v28, vcc
	s_mov_b64 s[72:73], 0
.LBB68_28:                              ;   Parent Loop BB68_7 Depth=1
                                        ; =>  This Inner Loop Header: Depth=2
	global_load_dwordx2 v[29:30], v[27:28], off
	global_load_dwordx2 v[31:32], v[5:6], off
	v_max_f64 v[3:4], v[3:4], v[3:4]
	v_add_co_u32_e32 v5, vcc, 8, v5
	s_add_i32 s8, s8, 1
	v_addc_co_u32_e32 v6, vcc, 0, v6, vcc
	v_add_co_u32_e32 v27, vcc, 8, v27
	v_cmp_ge_i32_e64 s[6:7], s8, v10
	s_or_b64 s[72:73], s[6:7], s[72:73]
	v_addc_co_u32_e32 v28, vcc, 0, v28, vcc
	s_waitcnt vmcnt(1)
	v_max_f64 v[29:30], |v[29:30]|, |v[29:30]|
	s_waitcnt vmcnt(0)
	v_max_f64 v[31:32], |v[31:32]|, |v[31:32]|
	v_max_f64 v[29:30], v[31:32], v[29:30]
	v_max_f64 v[3:4], v[3:4], v[29:30]
	s_andn2_b64 exec, exec, s[72:73]
	s_cbranch_execnz .LBB68_28
; %bb.29:                               ;   in Loop: Header=BB68_7 Depth=1
	s_or_b64 exec, exec, s[72:73]
.LBB68_30:                              ;   in Loop: Header=BB68_7 Depth=1
	s_or_b64 exec, exec, s[70:71]
	ds_write_b64 v9, v[3:4] offset:8
.LBB68_31:                              ;   in Loop: Header=BB68_7 Depth=1
	s_or_b64 exec, exec, s[68:69]
	s_waitcnt lgkmcnt(0)
	s_barrier
	ds_read_b64 v[3:4], v9 offset:8
	ds_read2_b32 v[5:6], v9 offset0:4 offset1:8
	s_waitcnt lgkmcnt(1)
	v_cmp_eq_f64_e32 vcc, 0, v[3:4]
	s_waitcnt lgkmcnt(0)
	v_cmp_eq_u32_e64 s[6:7], v6, v5
	s_or_b64 s[6:7], s[6:7], vcc
	s_and_b64 vcc, exec, s[6:7]
	s_cbranch_vccnz .LBB68_6
; %bb.32:                               ;   in Loop: Header=BB68_7 Depth=1
	v_cmp_nlt_f64_e32 vcc, s[44:45], v[3:4]
	s_mov_b64 s[6:7], -1
	s_cbranch_vccz .LBB68_41
; %bb.33:                               ;   in Loop: Header=BB68_7 Depth=1
	v_cmp_ngt_f64_e32 vcc, s[30:31], v[3:4]
	s_cbranch_vccnz .LBB68_40
; %bb.34:                               ;   in Loop: Header=BB68_7 Depth=1
	v_div_scale_f64 v[5:6], s[6:7], s[30:31], s[30:31], v[3:4]
	v_div_scale_f64 v[31:32], vcc, v[3:4], s[30:31], v[3:4]
	v_rcp_f64_e32 v[27:28], v[5:6]
	v_fma_f64 v[29:30], -v[5:6], v[27:28], 1.0
	v_fma_f64 v[27:28], v[27:28], v[29:30], v[27:28]
	v_fma_f64 v[29:30], -v[5:6], v[27:28], 1.0
	v_fma_f64 v[27:28], v[27:28], v[29:30], v[27:28]
	v_mul_f64 v[29:30], v[31:32], v[27:28]
	v_fma_f64 v[5:6], -v[5:6], v[29:30], v[31:32]
	v_div_fmas_f64 v[5:6], v[5:6], v[27:28], v[29:30]
	ds_read2_b32 v[27:28], v9 offset0:7 offset1:10
	v_div_fixup_f64 v[5:6], v[5:6], s[30:31], v[3:4]
	s_and_saveexec_b64 s[6:7], s[0:1]
	s_cbranch_execz .LBB68_36
; %bb.35:                               ;   in Loop: Header=BB68_7 Depth=1
	s_waitcnt lgkmcnt(0)
	v_ashrrev_i32_e32 v30, 31, v28
	v_mov_b32_e32 v29, v28
	v_lshlrev_b64 v[29:30], 3, v[29:30]
	v_mov_b32_e32 v0, s23
	v_add_co_u32_e32 v29, vcc, s22, v29
	v_addc_co_u32_e32 v30, vcc, v0, v30, vcc
	global_load_dwordx2 v[31:32], v[29:30], off
	s_waitcnt vmcnt(0)
	v_mul_f64 v[31:32], v[5:6], v[31:32]
	global_store_dwordx2 v[29:30], v[31:32], off
.LBB68_36:                              ;   in Loop: Header=BB68_7 Depth=1
	s_or_b64 exec, exec, s[6:7]
	s_waitcnt lgkmcnt(0)
	v_add_u32_e32 v29, v27, v7
	v_cmp_lt_i32_e32 vcc, v29, v28
	s_and_saveexec_b64 s[6:7], vcc
	s_cbranch_execz .LBB68_39
; %bb.37:                               ;   in Loop: Header=BB68_7 Depth=1
	v_ashrrev_i32_e32 v30, 31, v29
	v_lshlrev_b64 v[30:31], 3, v[29:30]
	s_mov_b64 s[8:9], 0
.LBB68_38:                              ;   Parent Loop BB68_7 Depth=1
                                        ; =>  This Inner Loop Header: Depth=2
	v_mov_b32_e32 v0, s23
	v_add_co_u32_e32 v32, vcc, s22, v30
	v_addc_co_u32_e32 v33, vcc, v0, v31, vcc
	global_load_dwordx2 v[34:35], v[32:33], off
	v_mov_b32_e32 v0, s92
	v_add_co_u32_e32 v36, vcc, s14, v30
	v_addc_co_u32_e32 v37, vcc, v0, v31, vcc
	v_mov_b32_e32 v0, s49
	v_add_co_u32_e32 v30, vcc, s48, v30
	v_add_u32_e32 v29, s36, v29
	v_addc_co_u32_e32 v31, vcc, v31, v0, vcc
	v_cmp_ge_i32_e32 vcc, v29, v28
	s_or_b64 s[8:9], vcc, s[8:9]
	s_waitcnt vmcnt(0)
	v_mul_f64 v[34:35], v[5:6], v[34:35]
	global_store_dwordx2 v[32:33], v[34:35], off
	global_load_dwordx2 v[32:33], v[36:37], off
	s_waitcnt vmcnt(0)
	v_mul_f64 v[32:33], v[5:6], v[32:33]
	global_store_dwordx2 v[36:37], v[32:33], off
	s_andn2_b64 exec, exec, s[8:9]
	s_cbranch_execnz .LBB68_38
.LBB68_39:                              ;   in Loop: Header=BB68_7 Depth=1
	s_or_b64 exec, exec, s[6:7]
.LBB68_40:                              ;   in Loop: Header=BB68_7 Depth=1
	s_mov_b64 s[6:7], 0
.LBB68_41:                              ;   in Loop: Header=BB68_7 Depth=1
	s_andn2_b64 vcc, exec, s[6:7]
	s_cbranch_vccnz .LBB68_48
; %bb.42:                               ;   in Loop: Header=BB68_7 Depth=1
	v_div_scale_f64 v[5:6], s[6:7], s[44:45], s[44:45], v[3:4]
	v_div_scale_f64 v[31:32], vcc, v[3:4], s[44:45], v[3:4]
	v_rcp_f64_e32 v[27:28], v[5:6]
	v_fma_f64 v[29:30], -v[5:6], v[27:28], 1.0
	v_fma_f64 v[27:28], v[27:28], v[29:30], v[27:28]
	v_fma_f64 v[29:30], -v[5:6], v[27:28], 1.0
	v_fma_f64 v[27:28], v[27:28], v[29:30], v[27:28]
	v_mul_f64 v[29:30], v[31:32], v[27:28]
	v_fma_f64 v[5:6], -v[5:6], v[29:30], v[31:32]
	v_div_fmas_f64 v[5:6], v[5:6], v[27:28], v[29:30]
	v_div_fixup_f64 v[3:4], v[5:6], s[44:45], v[3:4]
	ds_read2_b32 v[5:6], v9 offset0:7 offset1:10
	s_and_saveexec_b64 s[6:7], s[0:1]
	s_cbranch_execz .LBB68_44
; %bb.43:                               ;   in Loop: Header=BB68_7 Depth=1
	s_waitcnt lgkmcnt(0)
	v_ashrrev_i32_e32 v28, 31, v6
	v_mov_b32_e32 v27, v6
	v_lshlrev_b64 v[27:28], 3, v[27:28]
	v_mov_b32_e32 v0, s23
	v_add_co_u32_e32 v27, vcc, s22, v27
	v_addc_co_u32_e32 v28, vcc, v0, v28, vcc
	global_load_dwordx2 v[29:30], v[27:28], off
	s_waitcnt vmcnt(0)
	v_mul_f64 v[29:30], v[3:4], v[29:30]
	global_store_dwordx2 v[27:28], v[29:30], off
.LBB68_44:                              ;   in Loop: Header=BB68_7 Depth=1
	s_or_b64 exec, exec, s[6:7]
	s_waitcnt lgkmcnt(0)
	v_add_u32_e32 v27, v5, v7
	v_cmp_lt_i32_e32 vcc, v27, v6
	s_and_saveexec_b64 s[6:7], vcc
	s_cbranch_execz .LBB68_47
; %bb.45:                               ;   in Loop: Header=BB68_7 Depth=1
	v_ashrrev_i32_e32 v28, 31, v27
	v_lshlrev_b64 v[28:29], 3, v[27:28]
	s_mov_b64 s[8:9], 0
.LBB68_46:                              ;   Parent Loop BB68_7 Depth=1
                                        ; =>  This Inner Loop Header: Depth=2
	v_mov_b32_e32 v0, s23
	v_add_co_u32_e32 v30, vcc, s22, v28
	v_addc_co_u32_e32 v31, vcc, v0, v29, vcc
	global_load_dwordx2 v[32:33], v[30:31], off
	v_mov_b32_e32 v0, s92
	v_add_co_u32_e32 v34, vcc, s14, v28
	v_addc_co_u32_e32 v35, vcc, v0, v29, vcc
	v_mov_b32_e32 v0, s49
	v_add_co_u32_e32 v28, vcc, s48, v28
	v_add_u32_e32 v27, s36, v27
	v_addc_co_u32_e32 v29, vcc, v29, v0, vcc
	v_cmp_ge_i32_e32 vcc, v27, v6
	s_or_b64 s[8:9], vcc, s[8:9]
	s_waitcnt vmcnt(0)
	v_mul_f64 v[32:33], v[3:4], v[32:33]
	global_store_dwordx2 v[30:31], v[32:33], off
	global_load_dwordx2 v[30:31], v[34:35], off
	s_waitcnt vmcnt(0)
	v_mul_f64 v[30:31], v[3:4], v[30:31]
	global_store_dwordx2 v[34:35], v[30:31], off
	s_andn2_b64 exec, exec, s[8:9]
	s_cbranch_execnz .LBB68_46
.LBB68_47:                              ;   in Loop: Header=BB68_7 Depth=1
	s_or_b64 exec, exec, s[6:7]
.LBB68_48:                              ;   in Loop: Header=BB68_7 Depth=1
	s_waitcnt vmcnt(0)
	s_barrier
	ds_read_b32 v27, v9 offset:16
	ds_read_b64 v[29:30], v9 offset:32
	s_mov_b64 s[8:9], -1
                                        ; implicit-def: $vgpr33_vgpr34
                                        ; implicit-def: $vgpr31_vgpr32
                                        ; implicit-def: $vgpr28
	s_waitcnt lgkmcnt(0)
	v_cmp_gt_i32_e64 s[6:7], s33, v30
	v_cmp_lt_i32_e32 vcc, v29, v27
	v_cndmask_b32_e64 v0, 0, 1, s[6:7]
	v_cmp_ne_u32_e64 s[6:7], 1, v0
	s_cbranch_vccnz .LBB68_51
; %bb.49:                               ;   in Loop: Header=BB68_7 Depth=1
	buffer_load_dword v33, off, s[96:99], 0 offset:12 ; 4-byte Folded Reload
	buffer_load_dword v34, off, s[96:99], 0 offset:16 ; 4-byte Folded Reload
	;; [unrolled: 1-line block ×4, first 2 shown]
	buffer_load_dword v28, off, s[96:99], 0 ; 4-byte Folded Reload
	s_and_b64 vcc, exec, s[6:7]
	v_mov_b32_e32 v40, v30
	v_mov_b32_e32 v39, v29
	;; [unrolled: 1-line block ×3, first 2 shown]
	s_cbranch_vccz .LBB68_55
.LBB68_50:                              ;   in Loop: Header=BB68_7 Depth=1
	s_mov_b64 s[8:9], 0
.LBB68_51:                              ;   in Loop: Header=BB68_7 Depth=1
	s_andn2_b64 vcc, exec, s[8:9]
	s_cbranch_vccnz .LBB68_209
; %bb.52:                               ;   in Loop: Header=BB68_7 Depth=1
	s_and_b64 vcc, exec, s[6:7]
	s_cbranch_vccz .LBB68_133
	s_branch .LBB68_210
.LBB68_53:                              ;   in Loop: Header=BB68_55 Depth=2
	s_or_b64 exec, exec, s[8:9]
	s_waitcnt vmcnt(0)
	s_barrier
	ds_read_b32 v35, v9 offset:16
.LBB68_54:                              ;   in Loop: Header=BB68_55 Depth=2
	ds_read_b64 v[39:40], v9 offset:32
	s_waitcnt lgkmcnt(0)
	v_cmp_le_i32_e32 vcc, v35, v39
	v_cmp_gt_i32_e64 s[8:9], s33, v40
	s_and_b64 s[8:9], vcc, s[8:9]
	s_andn2_b64 vcc, exec, s[8:9]
	s_cbranch_vccnz .LBB68_50
.LBB68_55:                              ;   Parent Loop BB68_7 Depth=1
                                        ; =>  This Loop Header: Depth=2
                                        ;       Child Loop BB68_61 Depth 3
                                        ;       Child Loop BB68_81 Depth 3
	;; [unrolled: 1-line block ×3, first 2 shown]
                                        ;         Child Loop BB68_129 Depth 4
	s_and_saveexec_b64 s[68:69], s[0:1]
	s_cbranch_execz .LBB68_124
; %bb.56:                               ;   in Loop: Header=BB68_55 Depth=2
	v_cmp_lt_i32_e32 vcc, v35, v39
	s_mov_b64 s[8:9], 0
	s_cbranch_vccnz .LBB68_58
; %bb.57:                               ;   in Loop: Header=BB68_55 Depth=2
	v_ashrrev_i32_e32 v36, 31, v35
	v_mov_b32_e32 v4, v35
	s_mov_b64 s[70:71], -1
	v_mov_b32_e32 v5, v36
	v_mov_b32_e32 v3, v35
	s_cbranch_execz .LBB68_59
	s_branch .LBB68_64
.LBB68_58:                              ;   in Loop: Header=BB68_55 Depth=2
                                        ; implicit-def: $vgpr4_vgpr5
	s_mov_b64 s[70:71], 0
	v_mov_b32_e32 v3, v35
.LBB68_59:                              ;   in Loop: Header=BB68_55 Depth=2
	v_ashrrev_i32_e32 v36, 31, v35
	v_lshlrev_b64 v[3:4], 3, v[35:36]
	v_mov_b32_e32 v0, s92
	v_add_co_u32_e32 v5, vcc, s14, v3
	v_addc_co_u32_e32 v6, vcc, v0, v4, vcc
	v_mov_b32_e32 v0, s4
	v_add_co_u32_e32 v3, vcc, s67, v3
	v_addc_co_u32_e32 v4, vcc, v0, v4, vcc
	v_mov_b32_e32 v10, v35
	s_branch .LBB68_61
.LBB68_60:                              ;   in Loop: Header=BB68_61 Depth=3
	v_add_co_u32_e32 v5, vcc, 8, v31
	v_addc_co_u32_e32 v6, vcc, 0, v32, vcc
	v_add_u32_e32 v10, 1, v28
	v_add_co_u32_e32 v3, vcc, 8, v3
	v_addc_co_u32_e32 v4, vcc, 0, v4, vcc
	s_mov_b64 s[8:9], 0
	v_cmp_ge_i32_e64 s[70:71], v10, v39
	s_andn2_b64 vcc, exec, s[70:71]
	s_cbranch_vccz .LBB68_63
.LBB68_61:                              ;   Parent Loop BB68_7 Depth=1
                                        ;     Parent Loop BB68_55 Depth=2
                                        ; =>    This Inner Loop Header: Depth=3
	global_load_dwordx4 v[41:44], v[3:4], off
	s_waitcnt vmcnt(2)
	v_mov_b32_e32 v32, v6
	v_mov_b32_e32 v31, v5
	global_load_dwordx2 v[5:6], v[5:6], off
	s_waitcnt vmcnt(2)
	v_mov_b32_e32 v28, v10
	s_waitcnt vmcnt(1)
	v_mul_f64 v[33:34], v[41:42], v[43:44]
	s_waitcnt vmcnt(0)
	v_mul_f64 v[5:6], v[5:6], v[5:6]
	v_mul_f64 v[33:34], v[11:12], |v[33:34]|
	v_cmp_le_f64_e64 s[8:9], |v[5:6]|, v[33:34]
	s_and_b64 vcc, exec, s[8:9]
	s_cbranch_vccz .LBB68_60
; %bb.62:                               ;   in Loop: Header=BB68_55 Depth=2
	s_mov_b64 s[8:9], -1
                                        ; implicit-def: $vgpr10
                                        ; implicit-def: $vgpr5_vgpr6
                                        ; implicit-def: $vgpr3_vgpr4
.LBB68_63:                              ;   in Loop: Header=BB68_55 Depth=2
	v_mov_b32_e32 v33, v35
	v_mov_b32_e32 v4, v35
	s_xor_b64 s[70:71], s[8:9], -1
	s_mov_b64 s[8:9], -1
	v_mov_b32_e32 v34, v36
	v_mov_b32_e32 v3, v39
	;; [unrolled: 1-line block ×3, first 2 shown]
.LBB68_64:                              ;   in Loop: Header=BB68_55 Depth=2
	s_and_b64 vcc, exec, s[70:71]
	s_cbranch_vccnz .LBB68_93
; %bb.65:                               ;   in Loop: Header=BB68_55 Depth=2
	s_andn2_b64 vcc, exec, s[8:9]
	s_cbranch_vccnz .LBB68_67
.LBB68_66:                              ;   in Loop: Header=BB68_55 Depth=2
	s_waitcnt vmcnt(3)
	v_mov_b32_e32 v4, v33
	v_mov_b32_e32 v10, v9
	;; [unrolled: 1-line block ×3, first 2 shown]
	s_waitcnt vmcnt(0)
	v_mov_b32_e32 v3, v28
	ds_write2_b32 v9, v28, v35 offset0:5 offset1:7
	global_store_dwordx2 v[31:32], v[9:10], off
.LBB68_67:                              ;   in Loop: Header=BB68_55 Depth=2
	v_lshlrev_b64 v[38:39], 3, v[4:5]
	v_mov_b32_e32 v0, s23
	v_add_co_u32_e32 v36, vcc, s22, v38
	v_addc_co_u32_e32 v37, vcc, v0, v39, vcc
	global_load_dwordx2 v[50:51], v[36:37], off
	v_cmp_ne_u32_e32 vcc, v3, v35
	v_add_u32_e32 v4, 1, v35
	s_waitcnt vmcnt(0)
	ds_write_b64 v9, v[50:51]
	s_and_saveexec_b64 s[8:9], vcc
	s_xor_b64 s[70:71], exec, s[8:9]
	s_cbranch_execz .LBB68_121
; %bb.68:                               ;   in Loop: Header=BB68_55 Depth=2
	v_cmp_ne_u32_e32 vcc, v3, v4
	s_and_saveexec_b64 s[8:9], vcc
	s_xor_b64 s[8:9], exec, s[8:9]
	s_cbranch_execz .LBB68_97
; %bb.69:                               ;   in Loop: Header=BB68_55 Depth=2
	v_mov_b32_e32 v0, s92
	v_add_co_u32_e32 v5, vcc, s14, v38
	v_addc_co_u32_e32 v6, vcc, v0, v39, vcc
	global_load_dwordx2 v[15:16], v[36:37], off offset:8
	global_load_dwordx2 v[38:39], v[5:6], off
	v_ashrrev_i32_e32 v4, 31, v3
	v_mov_b32_e32 v10, v9
	ds_write_b64 v9, v[9:10]
	s_waitcnt vmcnt(1)
	v_add_f64 v[15:16], v[15:16], -v[50:51]
	s_waitcnt vmcnt(0)
	v_add_f64 v[41:42], v[38:39], v[38:39]
	v_div_scale_f64 v[43:44], s[72:73], v[41:42], v[41:42], v[15:16]
	v_rcp_f64_e32 v[45:46], v[43:44]
	v_fma_f64 v[47:48], -v[43:44], v[45:46], 1.0
	v_fma_f64 v[45:46], v[45:46], v[47:48], v[45:46]
	v_div_scale_f64 v[47:48], vcc, v[15:16], v[41:42], v[15:16]
	v_fma_f64 v[52:53], -v[43:44], v[45:46], 1.0
	v_fma_f64 v[45:46], v[45:46], v[52:53], v[45:46]
	v_mul_f64 v[52:53], v[47:48], v[45:46]
	v_fma_f64 v[43:44], -v[43:44], v[52:53], v[47:48]
	v_div_fmas_f64 v[43:44], v[43:44], v[45:46], v[52:53]
	v_div_fixup_f64 v[15:16], v[43:44], v[41:42], v[15:16]
	v_fma_f64 v[41:42], v[15:16], v[15:16], 1.0
	v_cmp_gt_f64_e32 vcc, s[64:65], v[41:42]
	v_cndmask_b32_e32 v0, 0, v60, vcc
	v_ldexp_f64 v[41:42], v[41:42], v0
	v_cndmask_b32_e32 v0, 0, v61, vcc
	v_rsq_f64_e32 v[43:44], v[41:42]
	v_cmp_class_f64_e32 vcc, v[41:42], v59
	v_mul_f64 v[45:46], v[41:42], v[43:44]
	v_mul_f64 v[43:44], v[43:44], 0.5
	v_fma_f64 v[47:48], -v[43:44], v[45:46], 0.5
	v_fma_f64 v[45:46], v[45:46], v[47:48], v[45:46]
	v_fma_f64 v[43:44], v[43:44], v[47:48], v[43:44]
	v_fma_f64 v[47:48], -v[45:46], v[45:46], v[41:42]
	v_fma_f64 v[45:46], v[47:48], v[43:44], v[45:46]
	v_fma_f64 v[47:48], -v[45:46], v[45:46], v[41:42]
	v_fma_f64 v[43:44], v[47:48], v[43:44], v[45:46]
	v_ldexp_f64 v[43:44], v[43:44], v0
	v_cndmask_b32_e32 v0, v44, v42, vcc
	v_cndmask_b32_e32 v41, v43, v41, vcc
	v_cmp_nle_f64_e32 vcc, 0, v[15:16]
	v_and_b32_e32 v1, 0x7fffffff, v0
	v_or_b32_e32 v0, 0x80000000, v0
	v_lshlrev_b64 v[44:45], 3, v[3:4]
	v_cndmask_b32_e32 v42, v1, v0, vcc
	v_add_f64 v[15:16], v[15:16], v[41:42]
	v_mov_b32_e32 v0, s23
	v_add_co_u32_e32 v48, vcc, s22, v44
	v_addc_co_u32_e32 v49, vcc, v0, v45, vcc
	global_load_dwordx2 v[52:53], v[48:49], off
	v_add_u32_e32 v0, 1, v40
	v_div_scale_f64 v[41:42], s[72:73], v[15:16], v[15:16], v[38:39]
	v_div_scale_f64 v[56:57], vcc, v[38:39], v[15:16], v[38:39]
	ds_write_b32 v9, v0 offset:36
	v_rcp_f64_e32 v[46:47], v[41:42]
	v_fma_f64 v[54:55], -v[41:42], v[46:47], 1.0
	v_fma_f64 v[46:47], v[46:47], v[54:55], v[46:47]
	v_fma_f64 v[54:55], -v[41:42], v[46:47], 1.0
	v_fma_f64 v[46:47], v[46:47], v[54:55], v[46:47]
	v_mul_f64 v[54:55], v[56:57], v[46:47]
	v_fma_f64 v[41:42], -v[41:42], v[54:55], v[56:57]
	v_div_fmas_f64 v[41:42], v[41:42], v[46:47], v[54:55]
	s_waitcnt vmcnt(0)
	v_add_f64 v[46:47], v[52:53], -v[50:51]
	v_cmp_gt_i32_e32 vcc, v3, v35
	v_div_fixup_f64 v[15:16], v[41:42], v[15:16], v[38:39]
	v_mov_b32_e32 v40, 0
	v_mov_b32_e32 v41, 0
	v_add_f64 v[38:39], v[46:47], v[15:16]
	s_and_saveexec_b64 s[72:73], vcc
	s_cbranch_execz .LBB68_96
; %bb.70:                               ;   in Loop: Header=BB68_55 Depth=2
	v_mov_b32_e32 v0, s92
	v_add_co_u32_e32 v15, vcc, s14, v44
	v_addc_co_u32_e32 v16, vcc, v0, v45, vcc
	global_load_dwordx2 v[50:51], v[15:16], off offset:-8
	v_mov_b32_e32 v46, 0
	v_mov_b32_e32 v42, 0
	;; [unrolled: 1-line block ×4, first 2 shown]
	s_waitcnt vmcnt(0)
	v_cmp_neq_f64_e32 vcc, 0, v[50:51]
	s_and_saveexec_b64 s[74:75], vcc
	s_cbranch_execz .LBB68_78
; %bb.71:                               ;   in Loop: Header=BB68_55 Depth=2
	v_cmp_neq_f64_e32 vcc, 0, v[38:39]
	v_mov_b32_e32 v42, 0
	v_mov_b32_e32 v46, 0
	;; [unrolled: 1-line block ×4, first 2 shown]
	s_and_saveexec_b64 s[76:77], vcc
	s_cbranch_execz .LBB68_77
; %bb.72:                               ;   in Loop: Header=BB68_55 Depth=2
	v_cmp_ngt_f64_e64 s[78:79], |v[50:51]|, |v[38:39]|
                                        ; implicit-def: $vgpr46_vgpr47
                                        ; implicit-def: $vgpr42_vgpr43
	s_and_saveexec_b64 s[80:81], s[78:79]
	s_xor_b64 s[78:79], exec, s[80:81]
	s_cbranch_execz .LBB68_74
; %bb.73:                               ;   in Loop: Header=BB68_55 Depth=2
	v_div_scale_f64 v[15:16], s[80:81], v[38:39], v[38:39], -v[50:51]
	v_rcp_f64_e32 v[40:41], v[15:16]
	v_fma_f64 v[42:43], -v[15:16], v[40:41], 1.0
	v_fma_f64 v[40:41], v[40:41], v[42:43], v[40:41]
	v_div_scale_f64 v[42:43], vcc, -v[50:51], v[38:39], -v[50:51]
	v_fma_f64 v[46:47], -v[15:16], v[40:41], 1.0
	v_fma_f64 v[40:41], v[40:41], v[46:47], v[40:41]
	v_mul_f64 v[46:47], v[42:43], v[40:41]
	v_fma_f64 v[15:16], -v[15:16], v[46:47], v[42:43]
	v_div_fmas_f64 v[15:16], v[15:16], v[40:41], v[46:47]
	v_div_fixup_f64 v[15:16], v[15:16], v[38:39], -v[50:51]
	v_fma_f64 v[38:39], v[15:16], v[15:16], 1.0
	v_cmp_gt_f64_e32 vcc, s[64:65], v[38:39]
	v_cndmask_b32_e32 v0, 0, v60, vcc
	v_ldexp_f64 v[38:39], v[38:39], v0
	v_cndmask_b32_e32 v0, 0, v61, vcc
	v_rsq_f64_e32 v[40:41], v[38:39]
	v_cmp_class_f64_e32 vcc, v[38:39], v59
	v_mul_f64 v[42:43], v[38:39], v[40:41]
	v_mul_f64 v[40:41], v[40:41], 0.5
	v_fma_f64 v[46:47], -v[40:41], v[42:43], 0.5
	v_fma_f64 v[42:43], v[42:43], v[46:47], v[42:43]
	v_fma_f64 v[40:41], v[40:41], v[46:47], v[40:41]
	v_fma_f64 v[46:47], -v[42:43], v[42:43], v[38:39]
	v_fma_f64 v[42:43], v[46:47], v[40:41], v[42:43]
	v_fma_f64 v[46:47], -v[42:43], v[42:43], v[38:39]
	v_fma_f64 v[40:41], v[46:47], v[40:41], v[42:43]
	v_ldexp_f64 v[40:41], v[40:41], v0
	v_cndmask_b32_e32 v39, v41, v39, vcc
	v_cndmask_b32_e32 v38, v40, v38, vcc
	v_div_scale_f64 v[40:41], s[80:81], v[38:39], v[38:39], 1.0
	v_div_scale_f64 v[54:55], vcc, 1.0, v[38:39], 1.0
	v_rcp_f64_e32 v[42:43], v[40:41]
	v_fma_f64 v[46:47], -v[40:41], v[42:43], 1.0
	v_fma_f64 v[42:43], v[42:43], v[46:47], v[42:43]
	v_fma_f64 v[46:47], -v[40:41], v[42:43], 1.0
	v_fma_f64 v[42:43], v[42:43], v[46:47], v[42:43]
	v_mul_f64 v[46:47], v[54:55], v[42:43]
	v_fma_f64 v[40:41], -v[40:41], v[46:47], v[54:55]
	v_div_fmas_f64 v[40:41], v[40:41], v[42:43], v[46:47]
	v_div_fixup_f64 v[42:43], v[40:41], v[38:39], 1.0
                                        ; implicit-def: $vgpr38_vgpr39
	v_mul_f64 v[46:47], v[15:16], v[42:43]
.LBB68_74:                              ;   in Loop: Header=BB68_55 Depth=2
	s_andn2_saveexec_b64 s[78:79], s[78:79]
	s_cbranch_execz .LBB68_76
; %bb.75:                               ;   in Loop: Header=BB68_55 Depth=2
	v_div_scale_f64 v[15:16], s[80:81], v[50:51], v[50:51], -v[38:39]
	v_rcp_f64_e32 v[40:41], v[15:16]
	v_fma_f64 v[42:43], -v[15:16], v[40:41], 1.0
	v_fma_f64 v[40:41], v[40:41], v[42:43], v[40:41]
	v_div_scale_f64 v[42:43], vcc, -v[38:39], v[50:51], -v[38:39]
	v_fma_f64 v[46:47], -v[15:16], v[40:41], 1.0
	v_fma_f64 v[40:41], v[40:41], v[46:47], v[40:41]
	v_mul_f64 v[46:47], v[42:43], v[40:41]
	v_fma_f64 v[15:16], -v[15:16], v[46:47], v[42:43]
	v_div_fmas_f64 v[15:16], v[15:16], v[40:41], v[46:47]
	v_div_fixup_f64 v[15:16], v[15:16], v[50:51], -v[38:39]
	v_fma_f64 v[38:39], v[15:16], v[15:16], 1.0
	v_cmp_gt_f64_e32 vcc, s[64:65], v[38:39]
	v_cndmask_b32_e32 v0, 0, v60, vcc
	v_ldexp_f64 v[38:39], v[38:39], v0
	v_cndmask_b32_e32 v0, 0, v61, vcc
	v_rsq_f64_e32 v[40:41], v[38:39]
	v_cmp_class_f64_e32 vcc, v[38:39], v59
	v_mul_f64 v[42:43], v[38:39], v[40:41]
	v_mul_f64 v[40:41], v[40:41], 0.5
	v_fma_f64 v[46:47], -v[40:41], v[42:43], 0.5
	v_fma_f64 v[42:43], v[42:43], v[46:47], v[42:43]
	v_fma_f64 v[40:41], v[40:41], v[46:47], v[40:41]
	v_fma_f64 v[46:47], -v[42:43], v[42:43], v[38:39]
	v_fma_f64 v[42:43], v[46:47], v[40:41], v[42:43]
	v_fma_f64 v[46:47], -v[42:43], v[42:43], v[38:39]
	v_fma_f64 v[40:41], v[46:47], v[40:41], v[42:43]
	v_ldexp_f64 v[40:41], v[40:41], v0
	v_cndmask_b32_e32 v39, v41, v39, vcc
	v_cndmask_b32_e32 v38, v40, v38, vcc
	v_div_scale_f64 v[40:41], s[80:81], v[38:39], v[38:39], 1.0
	v_div_scale_f64 v[54:55], vcc, 1.0, v[38:39], 1.0
	v_rcp_f64_e32 v[42:43], v[40:41]
	v_fma_f64 v[46:47], -v[40:41], v[42:43], 1.0
	v_fma_f64 v[42:43], v[42:43], v[46:47], v[42:43]
	v_fma_f64 v[46:47], -v[40:41], v[42:43], 1.0
	v_fma_f64 v[42:43], v[42:43], v[46:47], v[42:43]
	v_mul_f64 v[46:47], v[54:55], v[42:43]
	v_fma_f64 v[40:41], -v[40:41], v[46:47], v[54:55]
	v_div_fmas_f64 v[40:41], v[40:41], v[42:43], v[46:47]
	v_div_fixup_f64 v[46:47], v[40:41], v[38:39], 1.0
	v_mul_f64 v[42:43], v[15:16], v[46:47]
.LBB68_76:                              ;   in Loop: Header=BB68_55 Depth=2
	s_or_b64 exec, exec, s[78:79]
.LBB68_77:                              ;   in Loop: Header=BB68_55 Depth=2
	s_or_b64 exec, exec, s[76:77]
.LBB68_78:                              ;   in Loop: Header=BB68_55 Depth=2
	s_or_b64 exec, exec, s[74:75]
	global_load_dwordx2 v[15:16], v[48:49], off offset:-8
	v_add_f64 v[38:39], v[42:43], v[42:43]
	v_mov_b32_e32 v0, s66
	v_add_u32_e32 v54, -1, v3
	s_waitcnt vmcnt(0)
	v_add_f64 v[15:16], v[15:16], -v[52:53]
	v_mul_f64 v[15:16], v[46:47], v[15:16]
	v_fma_f64 v[15:16], v[50:51], v[38:39], -v[15:16]
	v_fma_f64 v[38:39], v[15:16], -v[46:47], v[52:53]
	v_mul_f64 v[40:41], v[15:16], -v[46:47]
	global_store_dwordx2 v[48:49], v[38:39], off
	v_fma_f64 v[38:39], v[42:43], v[15:16], -v[50:51]
	v_add_co_u32_e32 v15, vcc, s95, v44
	v_addc_co_u32_e32 v16, vcc, v0, v45, vcc
	v_add_co_u32_e32 v0, vcc, -8, v15
	v_addc_co_u32_e32 v1, vcc, -1, v16, vcc
	global_store_dwordx2 v[15:16], v[42:43], off offset:-8
	v_add_co_u32_e32 v15, vcc, s50, v0
	v_mov_b32_e32 v0, s51
	v_addc_co_u32_e32 v16, vcc, v1, v0, vcc
	v_cmp_gt_i32_e32 vcc, v54, v35
	ds_write_b64 v9, v[40:41]
	global_store_dwordx2 v[15:16], v[46:47], off offset:-8
	s_and_saveexec_b64 s[74:75], vcc
	s_cbranch_execz .LBB68_95
; %bb.79:                               ;   in Loop: Header=BB68_55 Depth=2
	v_ashrrev_i32_e32 v55, 31, v54
	v_lshlrev_b64 v[44:45], 3, v[54:55]
	v_readlane_b32 s82, v63, 8
	v_readlane_b32 s84, v63, 6
	v_xor_b32_e32 v47, 0x80000000, v47
	s_mov_b32 s27, -1
	s_mov_b64 s[76:77], 0
	s_mov_b64 s[78:79], s[56:57]
	;; [unrolled: 1-line block ×3, first 2 shown]
	v_readlane_b32 s83, v63, 9
	v_readlane_b32 s85, v63, 7
	s_branch .LBB68_81
.LBB68_80:                              ;   in Loop: Header=BB68_81 Depth=3
	v_add_co_u32_e32 v15, vcc, s80, v44
	v_mov_b32_e32 v4, s81
	v_addc_co_u32_e32 v16, vcc, v4, v45, vcc
	v_mul_f64 v[0:1], v[42:43], v[52:53]
	global_load_dwordx4 v[50:53], v[15:16], off offset:-8
	v_mov_b32_e32 v42, v48
	v_xor_b32_e32 v47, 0x80000000, v55
	v_mov_b32_e32 v46, v54
	v_mov_b32_e32 v43, v49
	s_waitcnt vmcnt(0)
	v_add_f64 v[17:18], v[52:53], -v[40:41]
	v_add_f64 v[40:41], v[48:49], v[48:49]
	v_add_f64 v[38:39], v[50:51], -v[17:18]
	v_mul_f64 v[38:39], v[54:55], v[38:39]
	v_fma_f64 v[38:39], v[0:1], v[40:41], -v[38:39]
	v_fma_f64 v[17:18], v[38:39], -v[54:55], v[17:18]
	v_mul_f64 v[40:41], v[38:39], -v[54:55]
	v_fma_f64 v[38:39], v[48:49], v[38:39], -v[0:1]
	v_add_co_u32_e32 v0, vcc, s82, v44
	v_mov_b32_e32 v1, s83
	v_addc_co_u32_e32 v1, vcc, v1, v45, vcc
	global_store_dwordx2 v[15:16], v[17:18], off
	global_store_dwordx2 v[0:1], v[48:49], off
	v_add_co_u32_e32 v0, vcc, s84, v44
	s_add_u32 s84, s84, -8
	v_mov_b32_e32 v1, s85
	s_addc_u32 s85, s85, -1
	s_add_u32 s82, s82, -8
	s_addc_u32 s83, s83, -1
	s_add_i32 s27, s27, -1
	s_add_u32 s80, s80, -8
	v_addc_co_u32_e32 v1, vcc, v1, v45, vcc
	s_addc_u32 s81, s81, -1
	global_store_dwordx2 v[0:1], v[54:55], off
	v_add_u32_e32 v0, s27, v3
	s_add_u32 s78, s78, -8
	s_addc_u32 s79, s79, -1
	v_cmp_le_i32_e32 vcc, v0, v35
	s_or_b64 s[76:77], vcc, s[76:77]
	s_andn2_b64 exec, exec, s[76:77]
	s_cbranch_execz .LBB68_94
.LBB68_81:                              ;   Parent Loop BB68_7 Depth=1
                                        ;     Parent Loop BB68_55 Depth=2
                                        ; =>    This Inner Loop Header: Depth=3
	v_mov_b32_e32 v0, s79
	v_add_co_u32_e32 v50, vcc, s78, v44
	v_addc_co_u32_e32 v51, vcc, v0, v45, vcc
	global_load_dwordx2 v[52:53], v[50:51], off
	v_mov_b32_e32 v54, 0
	v_mov_b32_e32 v48, 0
	;; [unrolled: 1-line block ×4, first 2 shown]
	s_waitcnt vmcnt(0)
	v_mul_f64 v[46:47], v[46:47], v[52:53]
	v_cmp_neq_f64_e32 vcc, 0, v[46:47]
	s_and_saveexec_b64 s[86:87], vcc
	s_cbranch_execz .LBB68_91
; %bb.82:                               ;   in Loop: Header=BB68_81 Depth=3
	v_cmp_neq_f64_e32 vcc, 0, v[38:39]
	v_xor_b32_e32 v57, 0x80000000, v47
	v_mov_b32_e32 v56, v46
                                        ; implicit-def: $vgpr54_vgpr55
                                        ; implicit-def: $vgpr48_vgpr49
	s_and_saveexec_b64 s[88:89], vcc
	s_xor_b64 s[88:89], exec, s[88:89]
	s_cbranch_execz .LBB68_88
; %bb.83:                               ;   in Loop: Header=BB68_81 Depth=3
	v_cmp_ngt_f64_e64 s[90:91], |v[46:47]|, |v[38:39]|
                                        ; implicit-def: $vgpr54_vgpr55
                                        ; implicit-def: $vgpr48_vgpr49
	s_and_saveexec_b64 vcc, s[90:91]
	s_xor_b64 s[90:91], exec, vcc
	s_cbranch_execz .LBB68_85
; %bb.84:                               ;   in Loop: Header=BB68_81 Depth=3
	v_div_scale_f64 v[0:1], s[16:17], v[38:39], v[38:39], -v[46:47]
	v_rcp_f64_e32 v[15:16], v[0:1]
	v_fma_f64 v[17:18], -v[0:1], v[15:16], 1.0
	v_fma_f64 v[15:16], v[15:16], v[17:18], v[15:16]
	v_div_scale_f64 v[17:18], vcc, -v[46:47], v[38:39], -v[46:47]
	v_fma_f64 v[48:49], -v[0:1], v[15:16], 1.0
	v_fma_f64 v[15:16], v[15:16], v[48:49], v[15:16]
	v_mul_f64 v[48:49], v[17:18], v[15:16]
	v_fma_f64 v[0:1], -v[0:1], v[48:49], v[17:18]
	v_div_fmas_f64 v[0:1], v[0:1], v[15:16], v[48:49]
	v_div_fixup_f64 v[0:1], v[0:1], v[38:39], -v[46:47]
	v_fma_f64 v[15:16], v[0:1], v[0:1], 1.0
	v_cmp_gt_f64_e32 vcc, s[64:65], v[15:16]
	v_cndmask_b32_e32 v4, 0, v60, vcc
	v_ldexp_f64 v[15:16], v[15:16], v4
	v_cndmask_b32_e32 v4, 0, v61, vcc
	v_rsq_f64_e32 v[17:18], v[15:16]
	v_cmp_class_f64_e32 vcc, v[15:16], v59
	v_mul_f64 v[48:49], v[15:16], v[17:18]
	v_mul_f64 v[17:18], v[17:18], 0.5
	v_fma_f64 v[54:55], -v[17:18], v[48:49], 0.5
	v_fma_f64 v[48:49], v[48:49], v[54:55], v[48:49]
	v_fma_f64 v[17:18], v[17:18], v[54:55], v[17:18]
	v_fma_f64 v[54:55], -v[48:49], v[48:49], v[15:16]
	v_fma_f64 v[48:49], v[54:55], v[17:18], v[48:49]
	v_fma_f64 v[54:55], -v[48:49], v[48:49], v[15:16]
	v_fma_f64 v[17:18], v[54:55], v[17:18], v[48:49]
	v_ldexp_f64 v[17:18], v[17:18], v4
	v_cndmask_b32_e32 v16, v18, v16, vcc
	v_cndmask_b32_e32 v15, v17, v15, vcc
	v_div_scale_f64 v[17:18], s[16:17], v[15:16], v[15:16], 1.0
	v_div_scale_f64 v[56:57], vcc, 1.0, v[15:16], 1.0
	v_rcp_f64_e32 v[48:49], v[17:18]
	v_fma_f64 v[54:55], -v[17:18], v[48:49], 1.0
	v_fma_f64 v[48:49], v[48:49], v[54:55], v[48:49]
	v_fma_f64 v[54:55], -v[17:18], v[48:49], 1.0
	v_fma_f64 v[48:49], v[48:49], v[54:55], v[48:49]
	v_mul_f64 v[54:55], v[56:57], v[48:49]
	v_fma_f64 v[17:18], -v[17:18], v[54:55], v[56:57]
	v_div_fmas_f64 v[17:18], v[17:18], v[48:49], v[54:55]
	v_div_fixup_f64 v[48:49], v[17:18], v[15:16], 1.0
	v_mul_f64 v[54:55], v[0:1], v[48:49]
.LBB68_85:                              ;   in Loop: Header=BB68_81 Depth=3
	s_andn2_saveexec_b64 s[90:91], s[90:91]
	s_cbranch_execz .LBB68_87
; %bb.86:                               ;   in Loop: Header=BB68_81 Depth=3
	v_div_scale_f64 v[15:16], s[16:17], v[46:47], v[46:47], -v[38:39]
	v_rcp_f64_e32 v[48:49], v[15:16]
	v_fma_f64 v[54:55], -v[15:16], v[48:49], 1.0
	v_fma_f64 v[48:49], v[48:49], v[54:55], v[48:49]
	v_div_scale_f64 v[54:55], vcc, -v[38:39], v[46:47], -v[38:39]
	v_fma_f64 v[56:57], -v[15:16], v[48:49], 1.0
	v_fma_f64 v[48:49], v[48:49], v[56:57], v[48:49]
	v_mul_f64 v[56:57], v[54:55], v[48:49]
	v_fma_f64 v[15:16], -v[15:16], v[56:57], v[54:55]
	v_div_fmas_f64 v[15:16], v[15:16], v[48:49], v[56:57]
	v_div_fixup_f64 v[15:16], v[15:16], v[46:47], -v[38:39]
	v_fma_f64 v[48:49], v[15:16], v[15:16], 1.0
	v_cmp_gt_f64_e32 vcc, s[64:65], v[48:49]
	v_cndmask_b32_e32 v0, 0, v60, vcc
	v_ldexp_f64 v[48:49], v[48:49], v0
	v_cndmask_b32_e32 v4, 0, v61, vcc
	v_rsq_f64_e32 v[54:55], v[48:49]
	v_cmp_class_f64_e32 vcc, v[48:49], v59
	v_mul_f64 v[56:57], v[48:49], v[54:55]
	v_mul_f64 v[54:55], v[54:55], 0.5
	v_fma_f64 v[0:1], -v[54:55], v[56:57], 0.5
	v_fma_f64 v[56:57], v[56:57], v[0:1], v[56:57]
	v_fma_f64 v[0:1], v[54:55], v[0:1], v[54:55]
	v_fma_f64 v[54:55], -v[56:57], v[56:57], v[48:49]
	v_fma_f64 v[54:55], v[54:55], v[0:1], v[56:57]
	v_fma_f64 v[56:57], -v[54:55], v[54:55], v[48:49]
	v_fma_f64 v[0:1], v[56:57], v[0:1], v[54:55]
	v_ldexp_f64 v[0:1], v[0:1], v4
	v_cndmask_b32_e32 v1, v1, v49, vcc
	v_cndmask_b32_e32 v0, v0, v48, vcc
	v_div_scale_f64 v[48:49], s[16:17], v[0:1], v[0:1], 1.0
	v_div_scale_f64 v[17:18], vcc, 1.0, v[0:1], 1.0
	v_rcp_f64_e32 v[54:55], v[48:49]
	v_fma_f64 v[56:57], -v[48:49], v[54:55], 1.0
	v_fma_f64 v[54:55], v[54:55], v[56:57], v[54:55]
	v_fma_f64 v[56:57], -v[48:49], v[54:55], 1.0
	v_fma_f64 v[54:55], v[54:55], v[56:57], v[54:55]
	v_mul_f64 v[56:57], v[17:18], v[54:55]
	v_fma_f64 v[17:18], -v[48:49], v[56:57], v[17:18]
	v_div_fmas_f64 v[17:18], v[17:18], v[54:55], v[56:57]
	v_div_fixup_f64 v[54:55], v[17:18], v[0:1], 1.0
	v_mul_f64 v[48:49], v[15:16], v[54:55]
.LBB68_87:                              ;   in Loop: Header=BB68_81 Depth=3
	s_or_b64 exec, exec, s[90:91]
	v_mul_f64 v[0:1], v[46:47], v[54:55]
	v_fma_f64 v[56:57], v[38:39], v[48:49], -v[0:1]
.LBB68_88:                              ;   in Loop: Header=BB68_81 Depth=3
	s_andn2_saveexec_b64 s[88:89], s[88:89]
; %bb.89:                               ;   in Loop: Header=BB68_81 Depth=3
	v_mov_b32_e32 v48, 0
	v_mov_b32_e32 v54, 0
	;; [unrolled: 1-line block ×4, first 2 shown]
; %bb.90:                               ;   in Loop: Header=BB68_81 Depth=3
	s_or_b64 exec, exec, s[88:89]
	v_mov_b32_e32 v38, v56
	v_mov_b32_e32 v39, v57
.LBB68_91:                              ;   in Loop: Header=BB68_81 Depth=3
	s_or_b64 exec, exec, s[86:87]
	s_cmp_eq_u32 s27, 0
	s_cbranch_scc1 .LBB68_80
; %bb.92:                               ;   in Loop: Header=BB68_81 Depth=3
	global_store_dwordx2 v[50:51], v[38:39], off offset:8
	s_branch .LBB68_80
.LBB68_93:                              ;   in Loop: Header=BB68_55 Depth=2
	ds_write2_b32 v9, v3, v35 offset0:5 offset1:7
	s_cbranch_execz .LBB68_66
	s_branch .LBB68_67
.LBB68_94:                              ;   in Loop: Header=BB68_55 Depth=2
	s_or_b64 exec, exec, s[76:77]
	s_mov_b32 s84, 0x667f3bcd
	s_mov_b32 s85, 0x3ff6a09e
	ds_write_b64 v9, v[40:41]
.LBB68_95:                              ;   in Loop: Header=BB68_55 Depth=2
	s_or_b64 exec, exec, s[74:75]
	global_load_dwordx2 v[50:51], v[36:37], off
.LBB68_96:                              ;   in Loop: Header=BB68_55 Depth=2
	s_or_b64 exec, exec, s[72:73]
	s_waitcnt vmcnt(0)
	v_add_f64 v[3:4], v[50:51], -v[40:41]
                                        ; implicit-def: $vgpr35
                                        ; implicit-def: $vgpr50_vgpr51
	global_store_dwordx2 v[36:37], v[3:4], off
	global_store_dwordx2 v[5:6], v[38:39], off
                                        ; implicit-def: $vgpr38_vgpr39
                                        ; implicit-def: $vgpr36_vgpr37
.LBB68_97:                              ;   in Loop: Header=BB68_55 Depth=2
	s_andn2_saveexec_b64 s[72:73], s[8:9]
	s_cbranch_execz .LBB68_130
; %bb.98:                               ;   in Loop: Header=BB68_55 Depth=2
	v_mov_b32_e32 v0, s92
	v_add_co_u32_e32 v40, vcc, s14, v38
	v_addc_co_u32_e32 v41, vcc, v0, v39, vcc
	global_load_dwordx2 v[3:4], v[36:37], off offset:8
	global_load_dwordx2 v[46:47], v[40:41], off
                                        ; implicit-def: $vgpr48_vgpr49
	s_waitcnt vmcnt(1)
	v_add_f64 v[44:45], v[50:51], -v[3:4]
	s_waitcnt vmcnt(0)
	v_add_f64 v[42:43], v[46:47], v[46:47]
	v_cmp_ngt_f64_e64 s[8:9], |v[44:45]|, |v[42:43]|
	s_and_saveexec_b64 s[74:75], s[8:9]
	s_xor_b64 s[8:9], exec, s[74:75]
	s_cbranch_execz .LBB68_104
; %bb.99:                               ;   in Loop: Header=BB68_55 Depth=2
	v_cmp_nlt_f64_e64 s[74:75], |v[44:45]|, |v[42:43]|
                                        ; implicit-def: $vgpr48_vgpr49
	s_and_saveexec_b64 s[76:77], s[74:75]
	s_xor_b64 s[74:75], exec, s[76:77]
; %bb.100:                              ;   in Loop: Header=BB68_55 Depth=2
	v_mul_f64 v[48:49], |v[42:43]|, s[84:85]
; %bb.101:                              ;   in Loop: Header=BB68_55 Depth=2
	s_andn2_saveexec_b64 s[74:75], s[74:75]
	s_cbranch_execz .LBB68_103
; %bb.102:                              ;   in Loop: Header=BB68_55 Depth=2
	v_and_b32_e32 v6, 0x7fffffff, v45
	v_mov_b32_e32 v5, v44
	v_and_b32_e32 v49, 0x7fffffff, v43
	v_mov_b32_e32 v48, v42
	v_div_scale_f64 v[52:53], s[76:77], v[48:49], v[48:49], v[5:6]
	v_div_scale_f64 v[5:6], vcc, v[5:6], v[48:49], v[5:6]
	v_rcp_f64_e32 v[54:55], v[52:53]
	v_fma_f64 v[56:57], -v[52:53], v[54:55], 1.0
	v_fma_f64 v[54:55], v[54:55], v[56:57], v[54:55]
	v_fma_f64 v[48:49], -v[52:53], v[54:55], 1.0
	v_fma_f64 v[48:49], v[54:55], v[48:49], v[54:55]
	v_mul_f64 v[54:55], v[5:6], v[48:49]
	v_fma_f64 v[5:6], -v[52:53], v[54:55], v[5:6]
	v_div_fmas_f64 v[5:6], v[5:6], v[48:49], v[54:55]
	v_div_fixup_f64 v[5:6], v[5:6], |v[42:43]|, |v[44:45]|
	v_fma_f64 v[5:6], v[5:6], v[5:6], 1.0
	v_cmp_gt_f64_e32 vcc, s[64:65], v[5:6]
	v_cndmask_b32_e32 v0, 0, v60, vcc
	v_ldexp_f64 v[5:6], v[5:6], v0
	v_cndmask_b32_e32 v0, 0, v61, vcc
	v_rsq_f64_e32 v[48:49], v[5:6]
	v_cmp_class_f64_e32 vcc, v[5:6], v59
	v_mul_f64 v[52:53], v[5:6], v[48:49]
	v_mul_f64 v[48:49], v[48:49], 0.5
	v_fma_f64 v[54:55], -v[48:49], v[52:53], 0.5
	v_fma_f64 v[52:53], v[52:53], v[54:55], v[52:53]
	v_fma_f64 v[48:49], v[48:49], v[54:55], v[48:49]
	v_fma_f64 v[54:55], -v[52:53], v[52:53], v[5:6]
	v_fma_f64 v[52:53], v[54:55], v[48:49], v[52:53]
	v_fma_f64 v[54:55], -v[52:53], v[52:53], v[5:6]
	v_fma_f64 v[48:49], v[54:55], v[48:49], v[52:53]
	v_ldexp_f64 v[48:49], v[48:49], v0
	v_cndmask_b32_e32 v6, v49, v6, vcc
	v_cndmask_b32_e32 v5, v48, v5, vcc
	v_mul_f64 v[48:49], |v[42:43]|, v[5:6]
.LBB68_103:                             ;   in Loop: Header=BB68_55 Depth=2
	s_or_b64 exec, exec, s[74:75]
.LBB68_104:                             ;   in Loop: Header=BB68_55 Depth=2
	s_andn2_saveexec_b64 s[8:9], s[8:9]
	s_cbranch_execz .LBB68_106
; %bb.105:                              ;   in Loop: Header=BB68_55 Depth=2
	v_and_b32_e32 v6, 0x7fffffff, v43
	v_mov_b32_e32 v5, v42
	v_and_b32_e32 v49, 0x7fffffff, v45
	v_mov_b32_e32 v48, v44
	v_div_scale_f64 v[52:53], s[74:75], v[48:49], v[48:49], v[5:6]
	v_div_scale_f64 v[5:6], vcc, v[5:6], v[48:49], v[5:6]
	v_rcp_f64_e32 v[54:55], v[52:53]
	v_fma_f64 v[56:57], -v[52:53], v[54:55], 1.0
	v_fma_f64 v[54:55], v[54:55], v[56:57], v[54:55]
	v_fma_f64 v[48:49], -v[52:53], v[54:55], 1.0
	v_fma_f64 v[48:49], v[54:55], v[48:49], v[54:55]
	v_mul_f64 v[54:55], v[5:6], v[48:49]
	v_fma_f64 v[5:6], -v[52:53], v[54:55], v[5:6]
	v_div_fmas_f64 v[5:6], v[5:6], v[48:49], v[54:55]
	v_div_fixup_f64 v[5:6], v[5:6], |v[44:45]|, |v[42:43]|
	v_fma_f64 v[5:6], v[5:6], v[5:6], 1.0
	v_cmp_gt_f64_e32 vcc, s[64:65], v[5:6]
	v_cndmask_b32_e32 v0, 0, v60, vcc
	v_ldexp_f64 v[5:6], v[5:6], v0
	v_cndmask_b32_e32 v0, 0, v61, vcc
	v_rsq_f64_e32 v[48:49], v[5:6]
	v_cmp_class_f64_e32 vcc, v[5:6], v59
	v_mul_f64 v[52:53], v[5:6], v[48:49]
	v_mul_f64 v[48:49], v[48:49], 0.5
	v_fma_f64 v[54:55], -v[48:49], v[52:53], 0.5
	v_fma_f64 v[52:53], v[52:53], v[54:55], v[52:53]
	v_fma_f64 v[48:49], v[48:49], v[54:55], v[48:49]
	v_fma_f64 v[54:55], -v[52:53], v[52:53], v[5:6]
	v_fma_f64 v[52:53], v[54:55], v[48:49], v[52:53]
	v_fma_f64 v[54:55], -v[52:53], v[52:53], v[5:6]
	v_fma_f64 v[48:49], v[54:55], v[48:49], v[52:53]
	v_ldexp_f64 v[48:49], v[48:49], v0
	v_cndmask_b32_e32 v6, v49, v6, vcc
	v_cndmask_b32_e32 v5, v48, v5, vcc
	v_mul_f64 v[48:49], |v[44:45]|, v[5:6]
.LBB68_106:                             ;   in Loop: Header=BB68_55 Depth=2
	s_or_b64 exec, exec, s[8:9]
	v_add_f64 v[54:55], v[50:51], v[3:4]
	v_cmp_gt_f64_e64 vcc, |v[50:51]|, |v[3:4]|
	v_cmp_ngt_f64_e64 s[8:9], 0, v[54:55]
	v_cndmask_b32_e32 v53, v51, v4, vcc
	v_cndmask_b32_e32 v52, v50, v3, vcc
	;; [unrolled: 1-line block ×4, first 2 shown]
                                        ; implicit-def: $vgpr5_vgpr6
	s_and_saveexec_b64 s[74:75], s[8:9]
	s_xor_b64 s[8:9], exec, s[74:75]
	s_cbranch_execz .LBB68_112
; %bb.107:                              ;   in Loop: Header=BB68_55 Depth=2
	v_cmp_nlt_f64_e32 vcc, 0, v[54:55]
                                        ; implicit-def: $vgpr5_vgpr6
	s_and_saveexec_b64 s[74:75], vcc
	s_xor_b64 s[74:75], exec, s[74:75]
	s_cbranch_execz .LBB68_109
; %bb.108:                              ;   in Loop: Header=BB68_55 Depth=2
	v_mul_f64 v[3:4], v[48:49], 0.5
	v_mul_f64 v[5:6], v[48:49], -0.5
                                        ; implicit-def: $vgpr54_vgpr55
                                        ; implicit-def: $vgpr50_vgpr51
                                        ; implicit-def: $vgpr46_vgpr47
                                        ; implicit-def: $vgpr52_vgpr53
.LBB68_109:                             ;   in Loop: Header=BB68_55 Depth=2
	s_andn2_saveexec_b64 s[74:75], s[74:75]
	s_cbranch_execz .LBB68_111
; %bb.110:                              ;   in Loop: Header=BB68_55 Depth=2
	v_add_f64 v[3:4], v[54:55], v[48:49]
	v_mul_f64 v[3:4], v[3:4], 0.5
	v_div_scale_f64 v[5:6], s[76:77], v[3:4], v[3:4], v[50:51]
	v_rcp_f64_e32 v[15:16], v[5:6]
	v_fma_f64 v[54:55], -v[5:6], v[15:16], 1.0
	v_fma_f64 v[15:16], v[15:16], v[54:55], v[15:16]
	v_fma_f64 v[54:55], -v[5:6], v[15:16], 1.0
	v_fma_f64 v[15:16], v[15:16], v[54:55], v[15:16]
	v_div_scale_f64 v[54:55], vcc, v[50:51], v[3:4], v[50:51]
	v_mul_f64 v[56:57], v[54:55], v[15:16]
	v_fma_f64 v[5:6], -v[5:6], v[56:57], v[54:55]
	s_nop 1
	v_div_fmas_f64 v[5:6], v[5:6], v[15:16], v[56:57]
	v_div_scale_f64 v[15:16], s[76:77], v[3:4], v[3:4], v[46:47]
	v_div_fixup_f64 v[5:6], v[5:6], v[3:4], v[50:51]
	v_rcp_f64_e32 v[50:51], v[15:16]
	v_fma_f64 v[54:55], -v[15:16], v[50:51], 1.0
	v_fma_f64 v[50:51], v[50:51], v[54:55], v[50:51]
	v_fma_f64 v[54:55], -v[15:16], v[50:51], 1.0
	v_fma_f64 v[50:51], v[50:51], v[54:55], v[50:51]
	v_div_scale_f64 v[54:55], vcc, v[46:47], v[3:4], v[46:47]
	v_mul_f64 v[56:57], v[54:55], v[50:51]
	v_fma_f64 v[15:16], -v[15:16], v[56:57], v[54:55]
	s_nop 1
	v_div_fmas_f64 v[15:16], v[15:16], v[50:51], v[56:57]
	v_div_fixup_f64 v[15:16], v[15:16], v[3:4], v[46:47]
	v_mul_f64 v[15:16], v[46:47], v[15:16]
	v_fma_f64 v[5:6], v[52:53], v[5:6], -v[15:16]
.LBB68_111:                             ;   in Loop: Header=BB68_55 Depth=2
	s_or_b64 exec, exec, s[74:75]
                                        ; implicit-def: $vgpr54_vgpr55
                                        ; implicit-def: $vgpr50_vgpr51
                                        ; implicit-def: $vgpr46_vgpr47
                                        ; implicit-def: $vgpr52_vgpr53
.LBB68_112:                             ;   in Loop: Header=BB68_55 Depth=2
	s_or_saveexec_b64 s[8:9], s[8:9]
	v_mov_b32_e32 v10, 1
	s_xor_b64 exec, exec, s[8:9]
	s_cbranch_execz .LBB68_114
; %bb.113:                              ;   in Loop: Header=BB68_55 Depth=2
	v_add_f64 v[3:4], v[54:55], -v[48:49]
	v_mov_b32_e32 v10, -1
	v_mul_f64 v[3:4], v[3:4], 0.5
	v_div_scale_f64 v[5:6], s[74:75], v[3:4], v[3:4], v[50:51]
	v_rcp_f64_e32 v[54:55], v[5:6]
	v_fma_f64 v[56:57], -v[5:6], v[54:55], 1.0
	v_fma_f64 v[54:55], v[54:55], v[56:57], v[54:55]
	v_fma_f64 v[56:57], -v[5:6], v[54:55], 1.0
	v_fma_f64 v[54:55], v[54:55], v[56:57], v[54:55]
	v_div_scale_f64 v[56:57], vcc, v[50:51], v[3:4], v[50:51]
	v_mul_f64 v[15:16], v[56:57], v[54:55]
	v_fma_f64 v[5:6], -v[5:6], v[15:16], v[56:57]
	s_nop 1
	v_div_fmas_f64 v[5:6], v[5:6], v[54:55], v[15:16]
	v_div_scale_f64 v[15:16], s[74:75], v[3:4], v[3:4], v[46:47]
	v_div_fixup_f64 v[5:6], v[5:6], v[3:4], v[50:51]
	v_rcp_f64_e32 v[50:51], v[15:16]
	v_fma_f64 v[54:55], -v[15:16], v[50:51], 1.0
	v_fma_f64 v[50:51], v[50:51], v[54:55], v[50:51]
	v_fma_f64 v[54:55], -v[15:16], v[50:51], 1.0
	v_fma_f64 v[50:51], v[50:51], v[54:55], v[50:51]
	v_div_scale_f64 v[54:55], vcc, v[46:47], v[3:4], v[46:47]
	v_mul_f64 v[56:57], v[54:55], v[50:51]
	v_fma_f64 v[15:16], -v[15:16], v[56:57], v[54:55]
	s_nop 1
	v_div_fmas_f64 v[15:16], v[15:16], v[50:51], v[56:57]
	v_div_fixup_f64 v[15:16], v[15:16], v[3:4], v[46:47]
	v_mul_f64 v[15:16], v[46:47], v[15:16]
	v_fma_f64 v[5:6], v[52:53], v[5:6], -v[15:16]
.LBB68_114:                             ;   in Loop: Header=BB68_55 Depth=2
	s_or_b64 exec, exec, s[8:9]
	v_cmp_nle_f64_e64 s[8:9], 0, v[44:45]
	v_xor_b32_e32 v0, 0x80000000, v49
                                        ; implicit-def: $vgpr46_vgpr47
	v_cndmask_b32_e64 v49, v49, v0, s[8:9]
	v_add_f64 v[44:45], v[44:45], v[48:49]
                                        ; implicit-def: $vgpr48_vgpr49
	v_cmp_ngt_f64_e64 s[74:75], |v[44:45]|, |v[42:43]|
	s_and_saveexec_b64 s[76:77], s[74:75]
	s_xor_b64 s[74:75], exec, s[76:77]
	s_cbranch_execz .LBB68_118
; %bb.115:                              ;   in Loop: Header=BB68_55 Depth=2
	v_cmp_neq_f64_e32 vcc, 0, v[42:43]
	v_mov_b32_e32 v46, 0
	v_mov_b32_e32 v48, 0
	;; [unrolled: 1-line block ×4, first 2 shown]
	s_and_saveexec_b64 s[76:77], vcc
	s_cbranch_execz .LBB68_117
; %bb.116:                              ;   in Loop: Header=BB68_55 Depth=2
	v_div_scale_f64 v[15:16], s[78:79], v[42:43], v[42:43], -v[44:45]
	v_rcp_f64_e32 v[46:47], v[15:16]
	v_fma_f64 v[48:49], -v[15:16], v[46:47], 1.0
	v_fma_f64 v[46:47], v[46:47], v[48:49], v[46:47]
	v_div_scale_f64 v[48:49], vcc, -v[44:45], v[42:43], -v[44:45]
	v_fma_f64 v[50:51], -v[15:16], v[46:47], 1.0
	v_fma_f64 v[46:47], v[46:47], v[50:51], v[46:47]
	v_mul_f64 v[50:51], v[48:49], v[46:47]
	v_fma_f64 v[15:16], -v[15:16], v[50:51], v[48:49]
	v_div_fmas_f64 v[15:16], v[15:16], v[46:47], v[50:51]
	v_div_fixup_f64 v[15:16], v[15:16], v[42:43], -v[44:45]
	v_fma_f64 v[42:43], v[15:16], v[15:16], 1.0
	v_cmp_gt_f64_e32 vcc, s[64:65], v[42:43]
	v_cndmask_b32_e32 v0, 0, v60, vcc
	v_ldexp_f64 v[42:43], v[42:43], v0
	v_cndmask_b32_e32 v0, 0, v61, vcc
	v_rsq_f64_e32 v[44:45], v[42:43]
	v_cmp_class_f64_e32 vcc, v[42:43], v59
	v_mul_f64 v[46:47], v[42:43], v[44:45]
	v_mul_f64 v[44:45], v[44:45], 0.5
	v_fma_f64 v[48:49], -v[44:45], v[46:47], 0.5
	v_fma_f64 v[46:47], v[46:47], v[48:49], v[46:47]
	v_fma_f64 v[44:45], v[44:45], v[48:49], v[44:45]
	v_fma_f64 v[48:49], -v[46:47], v[46:47], v[42:43]
	v_fma_f64 v[46:47], v[48:49], v[44:45], v[46:47]
	v_fma_f64 v[48:49], -v[46:47], v[46:47], v[42:43]
	v_fma_f64 v[44:45], v[48:49], v[44:45], v[46:47]
	v_ldexp_f64 v[44:45], v[44:45], v0
	v_cndmask_b32_e32 v43, v45, v43, vcc
	v_cndmask_b32_e32 v42, v44, v42, vcc
	v_div_scale_f64 v[44:45], s[78:79], v[42:43], v[42:43], 1.0
	v_div_scale_f64 v[50:51], vcc, 1.0, v[42:43], 1.0
	v_rcp_f64_e32 v[46:47], v[44:45]
	v_fma_f64 v[48:49], -v[44:45], v[46:47], 1.0
	v_fma_f64 v[46:47], v[46:47], v[48:49], v[46:47]
	v_fma_f64 v[48:49], -v[44:45], v[46:47], 1.0
	v_fma_f64 v[46:47], v[46:47], v[48:49], v[46:47]
	v_mul_f64 v[48:49], v[50:51], v[46:47]
	v_fma_f64 v[44:45], -v[44:45], v[48:49], v[50:51]
	v_div_fmas_f64 v[44:45], v[44:45], v[46:47], v[48:49]
	v_div_fixup_f64 v[48:49], v[44:45], v[42:43], 1.0
	v_mul_f64 v[46:47], v[15:16], v[48:49]
.LBB68_117:                             ;   in Loop: Header=BB68_55 Depth=2
	s_or_b64 exec, exec, s[76:77]
                                        ; implicit-def: $vgpr44_vgpr45
                                        ; implicit-def: $vgpr42_vgpr43
.LBB68_118:                             ;   in Loop: Header=BB68_55 Depth=2
	s_andn2_saveexec_b64 s[74:75], s[74:75]
	s_cbranch_execz .LBB68_120
; %bb.119:                              ;   in Loop: Header=BB68_55 Depth=2
	v_div_scale_f64 v[15:16], s[76:77], v[44:45], v[44:45], -v[42:43]
	v_rcp_f64_e32 v[46:47], v[15:16]
	v_fma_f64 v[48:49], -v[15:16], v[46:47], 1.0
	v_fma_f64 v[46:47], v[46:47], v[48:49], v[46:47]
	v_div_scale_f64 v[48:49], vcc, -v[42:43], v[44:45], -v[42:43]
	v_fma_f64 v[50:51], -v[15:16], v[46:47], 1.0
	v_fma_f64 v[46:47], v[46:47], v[50:51], v[46:47]
	v_mul_f64 v[50:51], v[48:49], v[46:47]
	v_fma_f64 v[15:16], -v[15:16], v[50:51], v[48:49]
	v_div_fmas_f64 v[15:16], v[15:16], v[46:47], v[50:51]
	v_div_fixup_f64 v[15:16], v[15:16], v[44:45], -v[42:43]
	v_fma_f64 v[42:43], v[15:16], v[15:16], 1.0
	v_cmp_gt_f64_e32 vcc, s[64:65], v[42:43]
	v_cndmask_b32_e32 v0, 0, v60, vcc
	v_ldexp_f64 v[42:43], v[42:43], v0
	v_cndmask_b32_e32 v0, 0, v61, vcc
	v_rsq_f64_e32 v[44:45], v[42:43]
	v_cmp_class_f64_e32 vcc, v[42:43], v59
	v_mul_f64 v[46:47], v[42:43], v[44:45]
	v_mul_f64 v[44:45], v[44:45], 0.5
	v_fma_f64 v[48:49], -v[44:45], v[46:47], 0.5
	v_fma_f64 v[46:47], v[46:47], v[48:49], v[46:47]
	v_fma_f64 v[44:45], v[44:45], v[48:49], v[44:45]
	v_fma_f64 v[48:49], -v[46:47], v[46:47], v[42:43]
	v_fma_f64 v[46:47], v[48:49], v[44:45], v[46:47]
	v_fma_f64 v[48:49], -v[46:47], v[46:47], v[42:43]
	v_fma_f64 v[44:45], v[48:49], v[44:45], v[46:47]
	v_ldexp_f64 v[44:45], v[44:45], v0
	v_cndmask_b32_e32 v43, v45, v43, vcc
	v_cndmask_b32_e32 v42, v44, v42, vcc
	v_div_scale_f64 v[44:45], s[76:77], v[42:43], v[42:43], 1.0
	v_div_scale_f64 v[50:51], vcc, 1.0, v[42:43], 1.0
	v_rcp_f64_e32 v[46:47], v[44:45]
	v_fma_f64 v[48:49], -v[44:45], v[46:47], 1.0
	v_fma_f64 v[46:47], v[46:47], v[48:49], v[46:47]
	v_fma_f64 v[48:49], -v[44:45], v[46:47], 1.0
	v_fma_f64 v[46:47], v[46:47], v[48:49], v[46:47]
	v_mul_f64 v[48:49], v[50:51], v[46:47]
	v_fma_f64 v[44:45], -v[44:45], v[48:49], v[50:51]
	v_div_fmas_f64 v[44:45], v[44:45], v[46:47], v[48:49]
	v_div_fixup_f64 v[46:47], v[44:45], v[42:43], 1.0
	v_mul_f64 v[48:49], v[15:16], v[46:47]
.LBB68_120:                             ;   in Loop: Header=BB68_55 Depth=2
	s_or_b64 exec, exec, s[74:75]
	v_cndmask_b32_e64 v0, 1, -1, s[8:9]
	v_xor_b32_e32 v1, 0x80000000, v47
	v_cmp_eq_u32_e32 vcc, v10, v0
	v_cndmask_b32_e32 v16, v47, v49, vcc
	v_cndmask_b32_e32 v15, v46, v48, vcc
	;; [unrolled: 1-line block ×4, first 2 shown]
	v_mov_b32_e32 v0, s66
	v_add_co_u32_e32 v38, vcc, s95, v38
	v_addc_co_u32_e32 v39, vcc, v0, v39, vcc
	global_store_dwordx2 v[38:39], v[42:43], off
	v_mov_b32_e32 v0, s51
	v_add_co_u32_e32 v38, vcc, s50, v38
	v_addc_co_u32_e32 v39, vcc, v39, v0, vcc
	v_mov_b32_e32 v10, v9
	v_add_u32_e32 v0, 2, v35
	global_store_dwordx2 v[38:39], v[15:16], off offset:-8
	global_store_dwordx4 v[36:37], v[3:6], off
	global_store_dwordx2 v[40:41], v[9:10], off
	ds_write_b32 v9, v0 offset:16
	s_or_b64 exec, exec, s[72:73]
                                        ; implicit-def: $vgpr4
.LBB68_121:                             ;   in Loop: Header=BB68_55 Depth=2
	s_andn2_saveexec_b64 s[8:9], s[70:71]
.LBB68_122:                             ;   in Loop: Header=BB68_55 Depth=2
	ds_write_b32 v9, v4 offset:16
.LBB68_123:                             ;   in Loop: Header=BB68_55 Depth=2
	s_or_b64 exec, exec, s[8:9]
.LBB68_124:                             ;   in Loop: Header=BB68_55 Depth=2
	s_or_b64 exec, exec, s[68:69]
	s_waitcnt vmcnt(0) lgkmcnt(0)
	s_barrier
	ds_read_b64 v[0:1], v9 offset:16
	s_waitcnt lgkmcnt(0)
	v_readfirstlane_b32 s62, v1
	v_cmp_eq_u32_e32 vcc, s62, v0
	v_mov_b32_e32 v35, s62
	s_cbranch_vccnz .LBB68_54
; %bb.125:                              ;   in Loop: Header=BB68_55 Depth=2
	s_and_saveexec_b64 s[8:9], s[2:3]
	s_cbranch_execz .LBB68_53
; %bb.126:                              ;   in Loop: Header=BB68_55 Depth=2
	ds_read_b32 v0, v9 offset:28
	v_mov_b32_e32 v39, v7
	s_waitcnt lgkmcnt(0)
	v_readfirstlane_b32 s68, v0
	s_mul_i32 s16, s68, s15
	s_ashr_i32 s17, s16, 31
	s_lshl_b64 s[16:17], s[16:17], 4
	s_add_u32 s27, s93, s16
	s_addc_u32 s41, s94, s17
	s_sub_i32 s72, s62, s68
	s_mul_hi_i32 s69, s72, s46
	s_mul_i32 s68, s72, s46
	s_lshl_b64 s[68:69], s[68:69], 4
	s_add_u32 s73, s27, s68
	s_addc_u32 s74, s41, s69
	v_ashrrev_i32_e32 v1, 31, v0
	s_cmp_gt_i32 s72, 0
	v_lshlrev_b64 v[0:1], 3, v[0:1]
	s_cselect_b64 s[68:69], -1, 0
	s_add_i32 s62, s72, -1
	s_lshl_b64 s[70:71], s[62:63], 3
	v_mov_b32_e32 v3, s71
	v_add_co_u32_e32 v0, vcc, s70, v0
	s_mul_i32 s70, s59, s62
	s_mul_hi_u32 s71, s58, s62
	v_addc_co_u32_e32 v1, vcc, v1, v3, vcc
	s_add_i32 s71, s71, s70
	s_mul_i32 s62, s58, s62
	v_mov_b32_e32 v3, s66
	v_add_co_u32_e32 v35, vcc, s95, v0
	s_add_u32 s16, s62, s16
	v_addc_co_u32_e32 v36, vcc, v3, v1, vcc
	s_addc_u32 s17, s71, s17
	v_mov_b32_e32 v0, s17
	v_add_co_u32_e32 v37, vcc, s16, v8
	v_addc_co_u32_e32 v38, vcc, v58, v0, vcc
	s_mov_b64 s[70:71], 0
	s_branch .LBB68_128
.LBB68_127:                             ;   in Loop: Header=BB68_128 Depth=3
	v_add_u32_e32 v39, s36, v39
	v_cmp_le_i32_e32 vcc, s10, v39
	v_mov_b32_e32 v0, s61
	s_or_b64 s[70:71], vcc, s[70:71]
	v_add_co_u32_e32 v37, vcc, s60, v37
	v_addc_co_u32_e32 v38, vcc, v38, v0, vcc
	s_waitcnt vmcnt(0)
	global_store_dwordx4 v[40:41], v[3:6], off
	s_andn2_b64 exec, exec, s[70:71]
	s_cbranch_execz .LBB68_53
.LBB68_128:                             ;   Parent Loop BB68_7 Depth=1
                                        ;     Parent Loop BB68_55 Depth=2
                                        ; =>    This Loop Header: Depth=3
                                        ;         Child Loop BB68_129 Depth 4
	v_ashrrev_i32_e32 v40, 31, v39
	v_lshlrev_b64 v[0:1], 4, v[39:40]
	v_mov_b32_e32 v4, s74
	v_add_co_u32_e32 v3, vcc, s73, v0
	v_addc_co_u32_e32 v4, vcc, v4, v1, vcc
	global_load_dwordx4 v[3:6], v[3:4], off
	v_mov_b32_e32 v10, s41
	v_add_co_u32_e32 v40, vcc, s27, v0
	v_addc_co_u32_e32 v41, vcc, v10, v1, vcc
	v_mov_b32_e32 v43, v38
	v_mov_b32_e32 v45, v36
	s_andn2_b64 vcc, exec, s[68:69]
	v_mov_b32_e32 v42, v37
	v_mov_b32_e32 v44, v35
	s_mov_b32 s62, s72
	s_cbranch_vccnz .LBB68_127
.LBB68_129:                             ;   Parent Loop BB68_7 Depth=1
                                        ;     Parent Loop BB68_55 Depth=2
                                        ;       Parent Loop BB68_128 Depth=3
                                        ; =>      This Inner Loop Header: Depth=4
	v_add_co_u32_e32 v15, vcc, s11, v44
	v_mov_b32_e32 v10, s55
	v_addc_co_u32_e32 v16, vcc, v45, v10, vcc
	global_load_dwordx2 v[0:1], v[44:45], off
	s_nop 0
	global_load_dwordx2 v[15:16], v[15:16], off
	s_nop 0
	global_load_dwordx4 v[46:49], v[42:43], off offset:-8
	s_mul_i32 s16, s62, s47
	s_mul_hi_u32 s17, s62, s46
	s_add_i32 s17, s17, s16
	s_mul_i32 s16, s62, s46
	s_lshl_b64 s[16:17], s[16:17], 4
	v_mov_b32_e32 v10, s17
	s_add_i32 s75, s62, -1
	s_cmp_eq_u32 s75, 0
	s_mov_b32 s62, s75
	s_waitcnt vmcnt(0)
	v_mul_f64 v[17:18], v[15:16], v[46:47]
	v_mul_f64 v[52:53], v[15:16], v[48:49]
	v_fma_f64 v[50:51], v[3:4], v[0:1], -v[17:18]
	v_fma_f64 v[52:53], v[5:6], v[0:1], -v[52:53]
	v_add_co_u32_e32 v17, vcc, s16, v40
	v_addc_co_u32_e32 v18, vcc, v41, v10, vcc
	v_add_co_u32_e32 v44, vcc, -8, v44
	v_addc_co_u32_e32 v45, vcc, -1, v45, vcc
	global_store_dwordx4 v[17:18], v[50:53], off
	v_mul_f64 v[17:18], v[0:1], v[46:47]
	v_mul_f64 v[0:1], v[0:1], v[48:49]
	v_add_co_u32_e32 v42, vcc, s37, v42
	v_fma_f64 v[3:4], v[3:4], v[15:16], v[17:18]
	v_fma_f64 v[5:6], v[5:6], v[15:16], v[0:1]
	v_mov_b32_e32 v0, s52
	v_addc_co_u32_e32 v43, vcc, v43, v0, vcc
	s_cbranch_scc0 .LBB68_129
	s_branch .LBB68_127
.LBB68_130:                             ;   in Loop: Header=BB68_55 Depth=2
	s_or_b64 exec, exec, s[72:73]
                                        ; implicit-def: $vgpr4
	s_andn2_saveexec_b64 s[8:9], s[70:71]
	s_cbranch_execnz .LBB68_122
	s_branch .LBB68_123
.LBB68_131:                             ;   in Loop: Header=BB68_133 Depth=2
	s_or_b64 exec, exec, s[6:7]
	s_waitcnt vmcnt(0)
	s_barrier
	ds_read_b32 v27, v9 offset:16
.LBB68_132:                             ;   in Loop: Header=BB68_133 Depth=2
	ds_read_b64 v[29:30], v9 offset:32
	s_waitcnt lgkmcnt(0)
	v_cmp_ge_i32_e32 vcc, v27, v29
	v_cmp_gt_i32_e64 s[6:7], s33, v30
	s_and_b64 s[6:7], vcc, s[6:7]
	s_andn2_b64 vcc, exec, s[6:7]
	s_cbranch_vccnz .LBB68_210
.LBB68_133:                             ;   Parent Loop BB68_7 Depth=1
                                        ; =>  This Loop Header: Depth=2
                                        ;       Child Loop BB68_139 Depth 3
                                        ;       Child Loop BB68_159 Depth 3
	;; [unrolled: 1-line block ×3, first 2 shown]
                                        ;         Child Loop BB68_207 Depth 4
	s_and_saveexec_b64 s[8:9], s[0:1]
	s_cbranch_execz .LBB68_202
; %bb.134:                              ;   in Loop: Header=BB68_133 Depth=2
	v_cmp_gt_i32_e32 vcc, v27, v29
	s_mov_b64 s[6:7], 0
	s_cbranch_vccnz .LBB68_136
; %bb.135:                              ;   in Loop: Header=BB68_133 Depth=2
	s_waitcnt vmcnt(0)
	v_ashrrev_i32_e32 v28, 31, v27
	v_mov_b32_e32 v4, v27
	s_mov_b64 s[68:69], -1
	v_mov_b32_e32 v5, v28
	v_mov_b32_e32 v3, v27
	s_cbranch_execz .LBB68_137
	s_branch .LBB68_142
.LBB68_136:                             ;   in Loop: Header=BB68_133 Depth=2
                                        ; implicit-def: $vgpr4_vgpr5
	s_mov_b64 s[68:69], 0
	v_mov_b32_e32 v3, v27
.LBB68_137:                             ;   in Loop: Header=BB68_133 Depth=2
	s_waitcnt vmcnt(0)
	v_ashrrev_i32_e32 v28, 31, v27
	v_lshlrev_b64 v[0:1], 3, v[27:28]
	v_mov_b32_e32 v3, s92
	v_add_co_u32_e32 v13, vcc, s14, v0
	v_addc_co_u32_e32 v14, vcc, v3, v1, vcc
	v_mov_b32_e32 v4, s26
	v_add_co_u32_e32 v3, vcc, s53, v0
	v_addc_co_u32_e32 v4, vcc, v4, v1, vcc
	v_mov_b32_e32 v5, v27
	s_branch .LBB68_139
.LBB68_138:                             ;   in Loop: Header=BB68_139 Depth=3
	v_add_u32_e32 v5, -1, v62
	v_add_co_u32_e32 v3, vcc, -8, v3
	v_addc_co_u32_e32 v4, vcc, -1, v4, vcc
	s_mov_b64 s[68:69], 0
	v_cmp_le_i32_e64 s[6:7], v5, v29
	s_andn2_b64 vcc, exec, s[6:7]
	v_add_co_u32_e64 v13, s[6:7], -8, v13
	v_addc_co_u32_e64 v14, s[6:7], -1, v14, s[6:7]
	s_cbranch_vccz .LBB68_141
.LBB68_139:                             ;   Parent Loop BB68_7 Depth=1
                                        ;     Parent Loop BB68_133 Depth=2
                                        ; =>    This Inner Loop Header: Depth=3
	global_load_dwordx4 v[31:34], v[3:4], off
	global_load_dwordx2 v[0:1], v[13:14], off offset:-8
	v_mov_b32_e32 v62, v5
	s_waitcnt vmcnt(1)
	v_mul_f64 v[15:16], v[33:34], v[31:32]
	s_waitcnt vmcnt(0)
	v_mul_f64 v[0:1], v[0:1], v[0:1]
	v_mul_f64 v[15:16], v[11:12], |v[15:16]|
	v_cmp_le_f64_e64 s[6:7], |v[0:1]|, v[15:16]
	s_and_b64 vcc, exec, s[6:7]
	s_cbranch_vccz .LBB68_138
; %bb.140:                              ;   in Loop: Header=BB68_133 Depth=2
	s_mov_b64 s[68:69], -1
                                        ; implicit-def: $vgpr5
                                        ; implicit-def: $vgpr3_vgpr4
	v_add_co_u32_e64 v13, s[6:7], -8, v13
	v_addc_co_u32_e64 v14, s[6:7], -1, v14, s[6:7]
.LBB68_141:                             ;   in Loop: Header=BB68_133 Depth=2
	v_mov_b32_e32 v19, v27
	v_mov_b32_e32 v4, v27
	s_xor_b64 s[68:69], s[68:69], -1
	s_mov_b64 s[6:7], -1
	v_mov_b32_e32 v20, v28
	v_mov_b32_e32 v3, v29
	v_mov_b32_e32 v5, v28
.LBB68_142:                             ;   in Loop: Header=BB68_133 Depth=2
	s_and_b64 vcc, exec, s[68:69]
	s_cbranch_vccnz .LBB68_171
; %bb.143:                              ;   in Loop: Header=BB68_133 Depth=2
	s_andn2_b64 vcc, exec, s[6:7]
	s_cbranch_vccnz .LBB68_145
.LBB68_144:                             ;   in Loop: Header=BB68_133 Depth=2
	v_mov_b32_e32 v4, v19
	v_mov_b32_e32 v10, v9
	;; [unrolled: 1-line block ×4, first 2 shown]
	ds_write2_b32 v9, v62, v27 offset0:5 offset1:7
	global_store_dwordx2 v[13:14], v[9:10], off
.LBB68_145:                             ;   in Loop: Header=BB68_133 Depth=2
	s_waitcnt vmcnt(1)
	v_lshlrev_b64 v[31:32], 3, v[4:5]
	v_mov_b32_e32 v0, s23
	s_waitcnt vmcnt(0)
	v_add_co_u32_e32 v28, vcc, s22, v31
	v_addc_co_u32_e32 v29, vcc, v0, v32, vcc
	global_load_dwordx2 v[43:44], v[28:29], off
	v_cmp_ne_u32_e32 vcc, v3, v27
	v_add_u32_e32 v4, -1, v27
	s_waitcnt vmcnt(0)
	ds_write_b64 v9, v[43:44]
	s_and_saveexec_b64 s[6:7], vcc
	s_xor_b64 s[68:69], exec, s[6:7]
	s_cbranch_execz .LBB68_199
; %bb.146:                              ;   in Loop: Header=BB68_133 Depth=2
	v_cmp_ne_u32_e32 vcc, v3, v4
	s_and_saveexec_b64 s[6:7], vcc
	s_xor_b64 s[6:7], exec, s[6:7]
	s_cbranch_execz .LBB68_175
; %bb.147:                              ;   in Loop: Header=BB68_133 Depth=2
	v_mov_b32_e32 v4, s92
	v_add_co_u32_e32 v5, vcc, s14, v31
	v_addc_co_u32_e32 v6, vcc, v4, v32, vcc
	global_load_dwordx2 v[0:1], v[28:29], off offset:-8
	global_load_dwordx2 v[15:16], v[5:6], off offset:-8
	s_waitcnt vmcnt(1)
	v_add_f64 v[0:1], v[0:1], -v[43:44]
	s_waitcnt vmcnt(0)
	v_add_f64 v[17:18], v[15:16], v[15:16]
	v_div_scale_f64 v[31:32], s[16:17], v[17:18], v[17:18], v[0:1]
	v_rcp_f64_e32 v[33:34], v[31:32]
	v_fma_f64 v[35:36], -v[31:32], v[33:34], 1.0
	v_fma_f64 v[33:34], v[33:34], v[35:36], v[33:34]
	v_div_scale_f64 v[35:36], vcc, v[0:1], v[17:18], v[0:1]
	v_fma_f64 v[37:38], -v[31:32], v[33:34], 1.0
	v_fma_f64 v[33:34], v[33:34], v[37:38], v[33:34]
	v_mul_f64 v[37:38], v[35:36], v[33:34]
	v_fma_f64 v[31:32], -v[31:32], v[37:38], v[35:36]
	v_div_fmas_f64 v[31:32], v[31:32], v[33:34], v[37:38]
	v_div_fixup_f64 v[0:1], v[31:32], v[17:18], v[0:1]
	v_fma_f64 v[17:18], v[0:1], v[0:1], 1.0
	v_cmp_gt_f64_e32 vcc, s[64:65], v[17:18]
	v_cndmask_b32_e32 v4, 0, v60, vcc
	v_ldexp_f64 v[17:18], v[17:18], v4
	v_cndmask_b32_e32 v4, 0, v61, vcc
	v_rsq_f64_e32 v[31:32], v[17:18]
	v_cmp_class_f64_e32 vcc, v[17:18], v59
	v_mul_f64 v[33:34], v[17:18], v[31:32]
	v_mul_f64 v[31:32], v[31:32], 0.5
	v_fma_f64 v[35:36], -v[31:32], v[33:34], 0.5
	v_fma_f64 v[33:34], v[33:34], v[35:36], v[33:34]
	v_fma_f64 v[31:32], v[31:32], v[35:36], v[31:32]
	v_fma_f64 v[35:36], -v[33:34], v[33:34], v[17:18]
	v_fma_f64 v[33:34], v[35:36], v[31:32], v[33:34]
	v_fma_f64 v[35:36], -v[33:34], v[33:34], v[17:18]
	v_fma_f64 v[31:32], v[35:36], v[31:32], v[33:34]
	v_ldexp_f64 v[31:32], v[31:32], v4
	v_cndmask_b32_e32 v4, v32, v18, vcc
	v_cndmask_b32_e32 v17, v31, v17, vcc
	v_cmp_nle_f64_e32 vcc, 0, v[0:1]
	v_and_b32_e32 v10, 0x7fffffff, v4
	v_or_b32_e32 v4, 0x80000000, v4
	v_cndmask_b32_e32 v18, v10, v4, vcc
	v_add_f64 v[0:1], v[0:1], v[17:18]
	v_ashrrev_i32_e32 v4, 31, v3
	v_lshlrev_b64 v[38:39], 3, v[3:4]
	v_mov_b32_e32 v10, s23
	v_add_co_u32_e32 v36, vcc, s22, v38
	v_addc_co_u32_e32 v37, vcc, v10, v39, vcc
	v_div_scale_f64 v[17:18], s[16:17], v[0:1], v[0:1], v[15:16]
	global_load_dwordx2 v[40:41], v[36:37], off
	v_div_scale_f64 v[45:46], vcc, v[15:16], v[0:1], v[15:16]
	v_mov_b32_e32 v10, v9
	ds_write_b64 v9, v[9:10]
	v_rcp_f64_e32 v[31:32], v[17:18]
	v_fma_f64 v[33:34], -v[17:18], v[31:32], 1.0
	v_fma_f64 v[31:32], v[31:32], v[33:34], v[31:32]
	v_fma_f64 v[33:34], -v[17:18], v[31:32], 1.0
	v_fma_f64 v[31:32], v[31:32], v[33:34], v[31:32]
	v_mul_f64 v[33:34], v[45:46], v[31:32]
	v_fma_f64 v[17:18], -v[17:18], v[33:34], v[45:46]
	v_div_fmas_f64 v[17:18], v[17:18], v[31:32], v[33:34]
	v_mov_b32_e32 v34, 0
	s_waitcnt vmcnt(0)
	v_add_f64 v[31:32], v[40:41], -v[43:44]
	v_mov_b32_e32 v35, 0
	v_cmp_lt_i32_e32 vcc, v3, v27
	v_div_fixup_f64 v[0:1], v[17:18], v[0:1], v[15:16]
	v_add_f64 v[32:33], v[31:32], v[0:1]
	v_add_u32_e32 v0, 1, v30
	ds_write_b32 v9, v0 offset:36
	s_and_saveexec_b64 s[70:71], vcc
	s_cbranch_execz .LBB68_174
; %bb.148:                              ;   in Loop: Header=BB68_133 Depth=2
	v_mov_b32_e32 v1, s92
	v_add_co_u32_e32 v0, vcc, s14, v38
	v_addc_co_u32_e32 v1, vcc, v1, v39, vcc
	global_load_dwordx2 v[42:43], v[0:1], off
	v_mov_b32_e32 v46, 0
	v_mov_b32_e32 v30, 0
	;; [unrolled: 1-line block ×4, first 2 shown]
	s_waitcnt vmcnt(0)
	v_cmp_neq_f64_e32 vcc, 0, v[42:43]
	s_and_saveexec_b64 s[72:73], vcc
	s_cbranch_execz .LBB68_156
; %bb.149:                              ;   in Loop: Header=BB68_133 Depth=2
	v_cmp_neq_f64_e32 vcc, 0, v[32:33]
	v_mov_b32_e32 v30, 0
	v_mov_b32_e32 v46, 0
	;; [unrolled: 1-line block ×4, first 2 shown]
	s_and_saveexec_b64 s[74:75], vcc
	s_cbranch_execz .LBB68_155
; %bb.150:                              ;   in Loop: Header=BB68_133 Depth=2
	v_cmp_ngt_f64_e64 s[16:17], |v[42:43]|, |v[32:33]|
                                        ; implicit-def: $vgpr46_vgpr47
                                        ; implicit-def: $vgpr30_vgpr31
	s_and_saveexec_b64 s[76:77], s[16:17]
	s_xor_b64 s[76:77], exec, s[76:77]
	s_cbranch_execz .LBB68_152
; %bb.151:                              ;   in Loop: Header=BB68_133 Depth=2
	v_div_scale_f64 v[0:1], s[16:17], v[32:33], v[32:33], -v[42:43]
	v_rcp_f64_e32 v[15:16], v[0:1]
	v_fma_f64 v[17:18], -v[0:1], v[15:16], 1.0
	v_fma_f64 v[15:16], v[15:16], v[17:18], v[15:16]
	v_div_scale_f64 v[17:18], vcc, -v[42:43], v[32:33], -v[42:43]
	v_fma_f64 v[30:31], -v[0:1], v[15:16], 1.0
	v_fma_f64 v[15:16], v[15:16], v[30:31], v[15:16]
	v_mul_f64 v[30:31], v[17:18], v[15:16]
	v_fma_f64 v[0:1], -v[0:1], v[30:31], v[17:18]
	v_div_fmas_f64 v[0:1], v[0:1], v[15:16], v[30:31]
	v_div_fixup_f64 v[0:1], v[0:1], v[32:33], -v[42:43]
	v_fma_f64 v[15:16], v[0:1], v[0:1], 1.0
	v_cmp_gt_f64_e32 vcc, s[64:65], v[15:16]
	v_cndmask_b32_e32 v4, 0, v60, vcc
	v_ldexp_f64 v[15:16], v[15:16], v4
	v_cndmask_b32_e32 v4, 0, v61, vcc
	v_rsq_f64_e32 v[17:18], v[15:16]
	v_cmp_class_f64_e32 vcc, v[15:16], v59
	v_mul_f64 v[30:31], v[15:16], v[17:18]
	v_mul_f64 v[17:18], v[17:18], 0.5
	v_fma_f64 v[32:33], -v[17:18], v[30:31], 0.5
	v_fma_f64 v[30:31], v[30:31], v[32:33], v[30:31]
	v_fma_f64 v[17:18], v[17:18], v[32:33], v[17:18]
	v_fma_f64 v[32:33], -v[30:31], v[30:31], v[15:16]
	v_fma_f64 v[30:31], v[32:33], v[17:18], v[30:31]
	v_fma_f64 v[32:33], -v[30:31], v[30:31], v[15:16]
	v_fma_f64 v[17:18], v[32:33], v[17:18], v[30:31]
	v_ldexp_f64 v[17:18], v[17:18], v4
	v_cndmask_b32_e32 v16, v18, v16, vcc
	v_cndmask_b32_e32 v15, v17, v15, vcc
	v_div_scale_f64 v[17:18], s[16:17], v[15:16], v[15:16], 1.0
	v_div_scale_f64 v[34:35], vcc, 1.0, v[15:16], 1.0
	v_rcp_f64_e32 v[30:31], v[17:18]
	v_fma_f64 v[32:33], -v[17:18], v[30:31], 1.0
	v_fma_f64 v[30:31], v[30:31], v[32:33], v[30:31]
	v_fma_f64 v[32:33], -v[17:18], v[30:31], 1.0
	v_fma_f64 v[30:31], v[30:31], v[32:33], v[30:31]
	v_mul_f64 v[32:33], v[34:35], v[30:31]
	v_fma_f64 v[17:18], -v[17:18], v[32:33], v[34:35]
	v_div_fmas_f64 v[17:18], v[17:18], v[30:31], v[32:33]
                                        ; implicit-def: $vgpr32_vgpr33
	v_div_fixup_f64 v[30:31], v[17:18], v[15:16], 1.0
	v_mul_f64 v[46:47], v[0:1], v[30:31]
.LBB68_152:                             ;   in Loop: Header=BB68_133 Depth=2
	s_andn2_saveexec_b64 s[76:77], s[76:77]
	s_cbranch_execz .LBB68_154
; %bb.153:                              ;   in Loop: Header=BB68_133 Depth=2
	v_div_scale_f64 v[0:1], s[16:17], v[42:43], v[42:43], -v[32:33]
	v_rcp_f64_e32 v[15:16], v[0:1]
	v_fma_f64 v[17:18], -v[0:1], v[15:16], 1.0
	v_fma_f64 v[15:16], v[15:16], v[17:18], v[15:16]
	v_div_scale_f64 v[17:18], vcc, -v[32:33], v[42:43], -v[32:33]
	v_fma_f64 v[30:31], -v[0:1], v[15:16], 1.0
	v_fma_f64 v[15:16], v[15:16], v[30:31], v[15:16]
	v_mul_f64 v[30:31], v[17:18], v[15:16]
	v_fma_f64 v[0:1], -v[0:1], v[30:31], v[17:18]
	v_div_fmas_f64 v[0:1], v[0:1], v[15:16], v[30:31]
	v_div_fixup_f64 v[0:1], v[0:1], v[42:43], -v[32:33]
	v_fma_f64 v[15:16], v[0:1], v[0:1], 1.0
	v_cmp_gt_f64_e32 vcc, s[64:65], v[15:16]
	v_cndmask_b32_e32 v4, 0, v60, vcc
	v_ldexp_f64 v[15:16], v[15:16], v4
	v_cndmask_b32_e32 v4, 0, v61, vcc
	v_rsq_f64_e32 v[17:18], v[15:16]
	v_cmp_class_f64_e32 vcc, v[15:16], v59
	v_mul_f64 v[30:31], v[15:16], v[17:18]
	v_mul_f64 v[17:18], v[17:18], 0.5
	v_fma_f64 v[32:33], -v[17:18], v[30:31], 0.5
	v_fma_f64 v[30:31], v[30:31], v[32:33], v[30:31]
	v_fma_f64 v[17:18], v[17:18], v[32:33], v[17:18]
	v_fma_f64 v[32:33], -v[30:31], v[30:31], v[15:16]
	v_fma_f64 v[30:31], v[32:33], v[17:18], v[30:31]
	v_fma_f64 v[32:33], -v[30:31], v[30:31], v[15:16]
	v_fma_f64 v[17:18], v[32:33], v[17:18], v[30:31]
	v_ldexp_f64 v[17:18], v[17:18], v4
	v_cndmask_b32_e32 v16, v18, v16, vcc
	v_cndmask_b32_e32 v15, v17, v15, vcc
	v_div_scale_f64 v[17:18], s[16:17], v[15:16], v[15:16], 1.0
	v_div_scale_f64 v[34:35], vcc, 1.0, v[15:16], 1.0
	v_rcp_f64_e32 v[30:31], v[17:18]
	v_fma_f64 v[32:33], -v[17:18], v[30:31], 1.0
	v_fma_f64 v[30:31], v[30:31], v[32:33], v[30:31]
	v_fma_f64 v[32:33], -v[17:18], v[30:31], 1.0
	v_fma_f64 v[30:31], v[30:31], v[32:33], v[30:31]
	v_mul_f64 v[32:33], v[34:35], v[30:31]
	v_fma_f64 v[17:18], -v[17:18], v[32:33], v[34:35]
	v_div_fmas_f64 v[17:18], v[17:18], v[30:31], v[32:33]
	v_div_fixup_f64 v[46:47], v[17:18], v[15:16], 1.0
	v_mul_f64 v[30:31], v[0:1], v[46:47]
.LBB68_154:                             ;   in Loop: Header=BB68_133 Depth=2
	s_or_b64 exec, exec, s[76:77]
.LBB68_155:                             ;   in Loop: Header=BB68_133 Depth=2
	s_or_b64 exec, exec, s[74:75]
.LBB68_156:                             ;   in Loop: Header=BB68_133 Depth=2
	s_or_b64 exec, exec, s[72:73]
	global_load_dwordx2 v[0:1], v[36:37], off offset:8
	v_add_f64 v[15:16], v[30:31], v[30:31]
	v_mov_b32_e32 v4, s66
	v_add_co_u32_e32 v17, vcc, s95, v38
	v_addc_co_u32_e32 v18, vcc, v4, v39, vcc
	v_mov_b32_e32 v10, s51
	v_add_u32_e32 v48, 1, v3
	v_xor_b32_e32 v45, 0x80000000, v47
	v_mov_b32_e32 v44, v46
	s_waitcnt vmcnt(0)
	v_add_f64 v[0:1], v[0:1], -v[40:41]
	v_mul_f64 v[0:1], v[46:47], v[0:1]
	v_fma_f64 v[0:1], v[42:43], v[15:16], -v[0:1]
	v_mul_f64 v[34:35], v[0:1], -v[46:47]
	v_fma_f64 v[15:16], v[0:1], -v[46:47], v[40:41]
	v_fma_f64 v[32:33], v[30:31], v[0:1], -v[42:43]
	v_add_co_u32_e32 v0, vcc, s50, v17
	v_addc_co_u32_e32 v1, vcc, v18, v10, vcc
	v_cmp_lt_i32_e32 vcc, v48, v27
	ds_write_b64 v9, v[34:35]
	global_store_dwordx2 v[36:37], v[15:16], off
	global_store_dwordx2 v[17:18], v[30:31], off
	global_store_dwordx2 v[0:1], v[44:45], off offset:-8
	s_and_saveexec_b64 s[72:73], vcc
	s_cbranch_execz .LBB68_173
; %bb.157:                              ;   in Loop: Header=BB68_133 Depth=2
	v_ashrrev_i32_e32 v49, 31, v48
	v_lshlrev_b64 v[0:1], 3, v[48:49]
	v_mov_b32_e32 v4, s66
	v_add_co_u32_e32 v36, vcc, s95, v0
	v_addc_co_u32_e32 v37, vcc, v4, v1, vcc
	v_mov_b32_e32 v4, s57
	v_add_co_u32_e32 v38, vcc, s56, v0
	v_addc_co_u32_e32 v39, vcc, v4, v1, vcc
	;; [unrolled: 3-line block ×3, first 2 shown]
	s_mov_b32 s27, 1
	s_mov_b64 s[74:75], 0
	s_branch .LBB68_159
.LBB68_158:                             ;   in Loop: Header=BB68_159 Depth=3
	global_load_dwordx4 v[50:53], v[40:41], off
	v_mul_f64 v[17:18], v[30:31], v[42:43]
	v_add_f64 v[30:31], v[46:47], v[46:47]
	v_add_co_u32_e32 v38, vcc, 8, v38
	v_addc_co_u32_e32 v39, vcc, 0, v39, vcc
	v_mov_b32_e32 v4, s55
	s_add_i32 s27, s27, 1
	v_xor_b32_e32 v45, 0x80000000, v49
	v_mov_b32_e32 v44, v48
	s_waitcnt vmcnt(0)
	v_add_f64 v[0:1], v[50:51], -v[34:35]
	v_add_f64 v[15:16], v[52:53], -v[0:1]
	v_mul_f64 v[15:16], v[48:49], v[15:16]
	v_fma_f64 v[15:16], v[17:18], v[30:31], -v[15:16]
	v_add_co_u32_e32 v30, vcc, 8, v40
	v_addc_co_u32_e32 v31, vcc, 0, v41, vcc
	v_add_co_u32_e32 v42, vcc, s11, v36
	v_addc_co_u32_e32 v43, vcc, v37, v4, vcc
	v_fma_f64 v[0:1], v[15:16], -v[48:49], v[0:1]
	v_mul_f64 v[34:35], v[15:16], -v[48:49]
	v_fma_f64 v[32:33], v[46:47], v[15:16], -v[17:18]
	v_add_u32_e32 v4, s27, v3
	v_cmp_ge_i32_e32 vcc, v4, v27
	s_or_b64 s[74:75], vcc, s[74:75]
	global_store_dwordx2 v[40:41], v[0:1], off
	global_store_dwordx2 v[36:37], v[46:47], off
	;; [unrolled: 1-line block ×3, first 2 shown]
	v_mov_b32_e32 v41, v31
	v_add_co_u32_e32 v36, vcc, 8, v36
	v_mov_b32_e32 v40, v30
	v_mov_b32_e32 v30, v46
	v_addc_co_u32_e32 v37, vcc, 0, v37, vcc
	v_mov_b32_e32 v31, v47
	s_andn2_b64 exec, exec, s[74:75]
	s_cbranch_execz .LBB68_172
.LBB68_159:                             ;   Parent Loop BB68_7 Depth=1
                                        ;     Parent Loop BB68_133 Depth=2
                                        ; =>    This Inner Loop Header: Depth=3
	global_load_dwordx2 v[42:43], v[38:39], off offset:8
	v_mov_b32_e32 v48, 0
	v_mov_b32_e32 v46, 0
	v_mov_b32_e32 v49, 0
	v_mov_b32_e32 v47, 0x3ff00000
	s_waitcnt vmcnt(0)
	v_mul_f64 v[44:45], v[44:45], v[42:43]
	v_cmp_neq_f64_e32 vcc, 0, v[44:45]
	s_and_saveexec_b64 s[76:77], vcc
	s_cbranch_execz .LBB68_169
; %bb.160:                              ;   in Loop: Header=BB68_159 Depth=3
	v_cmp_neq_f64_e32 vcc, 0, v[32:33]
	v_xor_b32_e32 v51, 0x80000000, v45
	v_mov_b32_e32 v50, v44
                                        ; implicit-def: $vgpr48_vgpr49
                                        ; implicit-def: $vgpr46_vgpr47
	s_and_saveexec_b64 s[16:17], vcc
	s_xor_b64 s[78:79], exec, s[16:17]
	s_cbranch_execz .LBB68_166
; %bb.161:                              ;   in Loop: Header=BB68_159 Depth=3
	v_cmp_ngt_f64_e64 s[16:17], |v[44:45]|, |v[32:33]|
                                        ; implicit-def: $vgpr48_vgpr49
                                        ; implicit-def: $vgpr46_vgpr47
	s_and_saveexec_b64 s[80:81], s[16:17]
	s_xor_b64 s[80:81], exec, s[80:81]
	s_cbranch_execz .LBB68_163
; %bb.162:                              ;   in Loop: Header=BB68_159 Depth=3
	v_div_scale_f64 v[0:1], s[16:17], v[32:33], v[32:33], -v[44:45]
	v_rcp_f64_e32 v[15:16], v[0:1]
	v_fma_f64 v[17:18], -v[0:1], v[15:16], 1.0
	v_fma_f64 v[15:16], v[15:16], v[17:18], v[15:16]
	v_div_scale_f64 v[17:18], vcc, -v[44:45], v[32:33], -v[44:45]
	v_fma_f64 v[46:47], -v[0:1], v[15:16], 1.0
	v_fma_f64 v[15:16], v[15:16], v[46:47], v[15:16]
	v_mul_f64 v[46:47], v[17:18], v[15:16]
	v_fma_f64 v[0:1], -v[0:1], v[46:47], v[17:18]
	v_div_fmas_f64 v[0:1], v[0:1], v[15:16], v[46:47]
	v_div_fixup_f64 v[0:1], v[0:1], v[32:33], -v[44:45]
	v_fma_f64 v[15:16], v[0:1], v[0:1], 1.0
	v_cmp_gt_f64_e32 vcc, s[64:65], v[15:16]
	v_cndmask_b32_e32 v4, 0, v60, vcc
	v_ldexp_f64 v[15:16], v[15:16], v4
	v_cndmask_b32_e32 v4, 0, v61, vcc
	v_rsq_f64_e32 v[17:18], v[15:16]
	v_cmp_class_f64_e32 vcc, v[15:16], v59
	v_mul_f64 v[46:47], v[15:16], v[17:18]
	v_mul_f64 v[17:18], v[17:18], 0.5
	v_fma_f64 v[48:49], -v[17:18], v[46:47], 0.5
	v_fma_f64 v[46:47], v[46:47], v[48:49], v[46:47]
	v_fma_f64 v[17:18], v[17:18], v[48:49], v[17:18]
	v_fma_f64 v[48:49], -v[46:47], v[46:47], v[15:16]
	v_fma_f64 v[46:47], v[48:49], v[17:18], v[46:47]
	v_fma_f64 v[48:49], -v[46:47], v[46:47], v[15:16]
	v_fma_f64 v[17:18], v[48:49], v[17:18], v[46:47]
	v_ldexp_f64 v[17:18], v[17:18], v4
	v_cndmask_b32_e32 v16, v18, v16, vcc
	v_cndmask_b32_e32 v15, v17, v15, vcc
	v_div_scale_f64 v[17:18], s[16:17], v[15:16], v[15:16], 1.0
	v_div_scale_f64 v[50:51], vcc, 1.0, v[15:16], 1.0
	v_rcp_f64_e32 v[46:47], v[17:18]
	v_fma_f64 v[48:49], -v[17:18], v[46:47], 1.0
	v_fma_f64 v[46:47], v[46:47], v[48:49], v[46:47]
	v_fma_f64 v[48:49], -v[17:18], v[46:47], 1.0
	v_fma_f64 v[46:47], v[46:47], v[48:49], v[46:47]
	v_mul_f64 v[48:49], v[50:51], v[46:47]
	v_fma_f64 v[17:18], -v[17:18], v[48:49], v[50:51]
	v_div_fmas_f64 v[17:18], v[17:18], v[46:47], v[48:49]
	v_div_fixup_f64 v[46:47], v[17:18], v[15:16], 1.0
	v_mul_f64 v[48:49], v[0:1], v[46:47]
.LBB68_163:                             ;   in Loop: Header=BB68_159 Depth=3
	s_andn2_saveexec_b64 s[80:81], s[80:81]
	s_cbranch_execz .LBB68_165
; %bb.164:                              ;   in Loop: Header=BB68_159 Depth=3
	v_div_scale_f64 v[0:1], s[16:17], v[44:45], v[44:45], -v[32:33]
	v_rcp_f64_e32 v[15:16], v[0:1]
	v_fma_f64 v[17:18], -v[0:1], v[15:16], 1.0
	v_fma_f64 v[15:16], v[15:16], v[17:18], v[15:16]
	v_div_scale_f64 v[17:18], vcc, -v[32:33], v[44:45], -v[32:33]
	v_fma_f64 v[46:47], -v[0:1], v[15:16], 1.0
	v_fma_f64 v[15:16], v[15:16], v[46:47], v[15:16]
	v_mul_f64 v[46:47], v[17:18], v[15:16]
	v_fma_f64 v[0:1], -v[0:1], v[46:47], v[17:18]
	v_div_fmas_f64 v[0:1], v[0:1], v[15:16], v[46:47]
	v_div_fixup_f64 v[0:1], v[0:1], v[44:45], -v[32:33]
	v_fma_f64 v[15:16], v[0:1], v[0:1], 1.0
	v_cmp_gt_f64_e32 vcc, s[64:65], v[15:16]
	v_cndmask_b32_e32 v4, 0, v60, vcc
	v_ldexp_f64 v[15:16], v[15:16], v4
	v_cndmask_b32_e32 v4, 0, v61, vcc
	v_rsq_f64_e32 v[17:18], v[15:16]
	v_cmp_class_f64_e32 vcc, v[15:16], v59
	v_mul_f64 v[46:47], v[15:16], v[17:18]
	v_mul_f64 v[17:18], v[17:18], 0.5
	v_fma_f64 v[48:49], -v[17:18], v[46:47], 0.5
	v_fma_f64 v[46:47], v[46:47], v[48:49], v[46:47]
	v_fma_f64 v[17:18], v[17:18], v[48:49], v[17:18]
	v_fma_f64 v[48:49], -v[46:47], v[46:47], v[15:16]
	v_fma_f64 v[46:47], v[48:49], v[17:18], v[46:47]
	v_fma_f64 v[48:49], -v[46:47], v[46:47], v[15:16]
	v_fma_f64 v[17:18], v[48:49], v[17:18], v[46:47]
	v_ldexp_f64 v[17:18], v[17:18], v4
	v_cndmask_b32_e32 v16, v18, v16, vcc
	v_cndmask_b32_e32 v15, v17, v15, vcc
	v_div_scale_f64 v[17:18], s[16:17], v[15:16], v[15:16], 1.0
	v_div_scale_f64 v[50:51], vcc, 1.0, v[15:16], 1.0
	v_rcp_f64_e32 v[46:47], v[17:18]
	v_fma_f64 v[48:49], -v[17:18], v[46:47], 1.0
	v_fma_f64 v[46:47], v[46:47], v[48:49], v[46:47]
	v_fma_f64 v[48:49], -v[17:18], v[46:47], 1.0
	v_fma_f64 v[46:47], v[46:47], v[48:49], v[46:47]
	v_mul_f64 v[48:49], v[50:51], v[46:47]
	v_fma_f64 v[17:18], -v[17:18], v[48:49], v[50:51]
	v_div_fmas_f64 v[17:18], v[17:18], v[46:47], v[48:49]
	v_div_fixup_f64 v[48:49], v[17:18], v[15:16], 1.0
	v_mul_f64 v[46:47], v[0:1], v[48:49]
.LBB68_165:                             ;   in Loop: Header=BB68_159 Depth=3
	s_or_b64 exec, exec, s[80:81]
	v_mul_f64 v[0:1], v[44:45], v[48:49]
	v_fma_f64 v[50:51], v[32:33], v[46:47], -v[0:1]
.LBB68_166:                             ;   in Loop: Header=BB68_159 Depth=3
	s_andn2_saveexec_b64 s[78:79], s[78:79]
; %bb.167:                              ;   in Loop: Header=BB68_159 Depth=3
	v_mov_b32_e32 v46, 0
	v_mov_b32_e32 v48, 0
	;; [unrolled: 1-line block ×4, first 2 shown]
; %bb.168:                              ;   in Loop: Header=BB68_159 Depth=3
	s_or_b64 exec, exec, s[78:79]
	v_mov_b32_e32 v32, v50
	v_mov_b32_e32 v33, v51
.LBB68_169:                             ;   in Loop: Header=BB68_159 Depth=3
	s_or_b64 exec, exec, s[76:77]
	s_cmp_eq_u32 s27, 0
	s_cbranch_scc1 .LBB68_158
; %bb.170:                              ;   in Loop: Header=BB68_159 Depth=3
	global_store_dwordx2 v[38:39], v[32:33], off
	s_branch .LBB68_158
.LBB68_171:                             ;   in Loop: Header=BB68_133 Depth=2
	ds_write2_b32 v9, v3, v27 offset0:5 offset1:7
	s_cbranch_execz .LBB68_144
	s_branch .LBB68_145
.LBB68_172:                             ;   in Loop: Header=BB68_133 Depth=2
	s_or_b64 exec, exec, s[74:75]
	ds_write_b64 v9, v[34:35]
.LBB68_173:                             ;   in Loop: Header=BB68_133 Depth=2
	s_or_b64 exec, exec, s[72:73]
	global_load_dwordx2 v[43:44], v[28:29], off
.LBB68_174:                             ;   in Loop: Header=BB68_133 Depth=2
	s_or_b64 exec, exec, s[70:71]
	s_waitcnt vmcnt(0)
	v_add_f64 v[0:1], v[43:44], -v[34:35]
                                        ; implicit-def: $vgpr27
                                        ; implicit-def: $vgpr43_vgpr44
                                        ; implicit-def: $vgpr3
	global_store_dwordx2 v[28:29], v[0:1], off
	global_store_dwordx2 v[5:6], v[32:33], off offset:-8
                                        ; implicit-def: $vgpr28_vgpr29
                                        ; implicit-def: $vgpr31_vgpr32
.LBB68_175:                             ;   in Loop: Header=BB68_133 Depth=2
	s_andn2_saveexec_b64 s[70:71], s[6:7]
	s_cbranch_execz .LBB68_208
; %bb.176:                              ;   in Loop: Header=BB68_133 Depth=2
	v_ashrrev_i32_e32 v4, 31, v3
	v_lshlrev_b64 v[33:34], 3, v[3:4]
	v_mov_b32_e32 v1, s23
	v_add_co_u32_e32 v0, vcc, s22, v33
	v_addc_co_u32_e32 v1, vcc, v1, v34, vcc
	v_mov_b32_e32 v3, s92
	v_add_co_u32_e32 v5, vcc, s14, v33
	v_addc_co_u32_e32 v6, vcc, v3, v34, vcc
	global_load_dwordx2 v[3:4], v[0:1], off
	global_load_dwordx2 v[39:40], v[5:6], off
                                        ; implicit-def: $vgpr41_vgpr42
	s_waitcnt vmcnt(1)
	v_add_f64 v[37:38], v[3:4], -v[43:44]
	s_waitcnt vmcnt(0)
	v_add_f64 v[35:36], v[39:40], v[39:40]
	v_cmp_ngt_f64_e64 s[6:7], |v[37:38]|, |v[35:36]|
	s_and_saveexec_b64 s[16:17], s[6:7]
	s_xor_b64 s[6:7], exec, s[16:17]
	s_cbranch_execz .LBB68_182
; %bb.177:                              ;   in Loop: Header=BB68_133 Depth=2
	v_cmp_nlt_f64_e64 s[16:17], |v[37:38]|, |v[35:36]|
                                        ; implicit-def: $vgpr41_vgpr42
	s_and_saveexec_b64 s[72:73], s[16:17]
	s_xor_b64 s[72:73], exec, s[72:73]
; %bb.178:                              ;   in Loop: Header=BB68_133 Depth=2
	v_mul_f64 v[41:42], |v[35:36]|, s[84:85]
; %bb.179:                              ;   in Loop: Header=BB68_133 Depth=2
	s_andn2_saveexec_b64 s[72:73], s[72:73]
	s_cbranch_execz .LBB68_181
; %bb.180:                              ;   in Loop: Header=BB68_133 Depth=2
	v_and_b32_e32 v1, 0x7fffffff, v38
	v_mov_b32_e32 v0, v37
	v_and_b32_e32 v6, 0x7fffffff, v36
	v_mov_b32_e32 v5, v35
	v_div_scale_f64 v[15:16], s[16:17], v[5:6], v[5:6], v[0:1]
	v_div_scale_f64 v[0:1], vcc, v[0:1], v[5:6], v[0:1]
	v_rcp_f64_e32 v[17:18], v[15:16]
	v_fma_f64 v[41:42], -v[15:16], v[17:18], 1.0
	v_fma_f64 v[17:18], v[17:18], v[41:42], v[17:18]
	v_fma_f64 v[5:6], -v[15:16], v[17:18], 1.0
	v_fma_f64 v[5:6], v[17:18], v[5:6], v[17:18]
	v_mul_f64 v[17:18], v[0:1], v[5:6]
	v_fma_f64 v[0:1], -v[15:16], v[17:18], v[0:1]
	v_div_fmas_f64 v[0:1], v[0:1], v[5:6], v[17:18]
	v_div_fixup_f64 v[0:1], v[0:1], |v[35:36]|, |v[37:38]|
	v_fma_f64 v[0:1], v[0:1], v[0:1], 1.0
	v_cmp_gt_f64_e32 vcc, s[64:65], v[0:1]
	v_cndmask_b32_e32 v5, 0, v60, vcc
	v_ldexp_f64 v[0:1], v[0:1], v5
	v_cndmask_b32_e32 v10, 0, v61, vcc
	v_rsq_f64_e32 v[5:6], v[0:1]
	v_cmp_class_f64_e32 vcc, v[0:1], v59
	v_mul_f64 v[15:16], v[0:1], v[5:6]
	v_mul_f64 v[5:6], v[5:6], 0.5
	v_fma_f64 v[17:18], -v[5:6], v[15:16], 0.5
	v_fma_f64 v[15:16], v[15:16], v[17:18], v[15:16]
	v_fma_f64 v[5:6], v[5:6], v[17:18], v[5:6]
	v_fma_f64 v[17:18], -v[15:16], v[15:16], v[0:1]
	v_fma_f64 v[15:16], v[17:18], v[5:6], v[15:16]
	v_fma_f64 v[17:18], -v[15:16], v[15:16], v[0:1]
	v_fma_f64 v[5:6], v[17:18], v[5:6], v[15:16]
	v_ldexp_f64 v[5:6], v[5:6], v10
	v_cndmask_b32_e32 v1, v6, v1, vcc
	v_cndmask_b32_e32 v0, v5, v0, vcc
	v_mul_f64 v[41:42], |v[35:36]|, v[0:1]
.LBB68_181:                             ;   in Loop: Header=BB68_133 Depth=2
	s_or_b64 exec, exec, s[72:73]
.LBB68_182:                             ;   in Loop: Header=BB68_133 Depth=2
	s_andn2_saveexec_b64 s[6:7], s[6:7]
	s_cbranch_execz .LBB68_184
; %bb.183:                              ;   in Loop: Header=BB68_133 Depth=2
	v_and_b32_e32 v1, 0x7fffffff, v36
	v_mov_b32_e32 v0, v35
	v_and_b32_e32 v6, 0x7fffffff, v38
	v_mov_b32_e32 v5, v37
	v_div_scale_f64 v[15:16], s[16:17], v[5:6], v[5:6], v[0:1]
	v_div_scale_f64 v[0:1], vcc, v[0:1], v[5:6], v[0:1]
	v_rcp_f64_e32 v[17:18], v[15:16]
	v_fma_f64 v[41:42], -v[15:16], v[17:18], 1.0
	v_fma_f64 v[17:18], v[17:18], v[41:42], v[17:18]
	v_fma_f64 v[5:6], -v[15:16], v[17:18], 1.0
	v_fma_f64 v[5:6], v[17:18], v[5:6], v[17:18]
	v_mul_f64 v[17:18], v[0:1], v[5:6]
	v_fma_f64 v[0:1], -v[15:16], v[17:18], v[0:1]
	v_div_fmas_f64 v[0:1], v[0:1], v[5:6], v[17:18]
	v_div_fixup_f64 v[0:1], v[0:1], |v[37:38]|, |v[35:36]|
	v_fma_f64 v[0:1], v[0:1], v[0:1], 1.0
	v_cmp_gt_f64_e32 vcc, s[64:65], v[0:1]
	v_cndmask_b32_e32 v5, 0, v60, vcc
	v_ldexp_f64 v[0:1], v[0:1], v5
	v_cndmask_b32_e32 v10, 0, v61, vcc
	v_rsq_f64_e32 v[5:6], v[0:1]
	v_cmp_class_f64_e32 vcc, v[0:1], v59
	v_mul_f64 v[15:16], v[0:1], v[5:6]
	v_mul_f64 v[5:6], v[5:6], 0.5
	v_fma_f64 v[17:18], -v[5:6], v[15:16], 0.5
	v_fma_f64 v[15:16], v[15:16], v[17:18], v[15:16]
	v_fma_f64 v[5:6], v[5:6], v[17:18], v[5:6]
	v_fma_f64 v[17:18], -v[15:16], v[15:16], v[0:1]
	v_fma_f64 v[15:16], v[17:18], v[5:6], v[15:16]
	v_fma_f64 v[17:18], -v[15:16], v[15:16], v[0:1]
	v_fma_f64 v[5:6], v[17:18], v[5:6], v[15:16]
	v_ldexp_f64 v[5:6], v[5:6], v10
	v_cndmask_b32_e32 v1, v6, v1, vcc
	v_cndmask_b32_e32 v0, v5, v0, vcc
	v_mul_f64 v[41:42], |v[37:38]|, v[0:1]
.LBB68_184:                             ;   in Loop: Header=BB68_133 Depth=2
	s_or_b64 exec, exec, s[6:7]
	v_add_f64 v[47:48], v[43:44], v[3:4]
	v_cmp_gt_f64_e64 vcc, |v[3:4]|, |v[43:44]|
	v_cmp_ngt_f64_e64 s[6:7], 0, v[47:48]
	v_cndmask_b32_e32 v46, v4, v44, vcc
	v_cndmask_b32_e32 v45, v3, v43, vcc
	;; [unrolled: 1-line block ×4, first 2 shown]
                                        ; implicit-def: $vgpr5_vgpr6
	s_and_saveexec_b64 s[16:17], s[6:7]
	s_xor_b64 s[6:7], exec, s[16:17]
	s_cbranch_execz .LBB68_190
; %bb.185:                              ;   in Loop: Header=BB68_133 Depth=2
	v_cmp_nlt_f64_e32 vcc, 0, v[47:48]
                                        ; implicit-def: $vgpr5_vgpr6
	s_and_saveexec_b64 s[16:17], vcc
	s_xor_b64 s[72:73], exec, s[16:17]
	s_cbranch_execz .LBB68_187
; %bb.186:                              ;   in Loop: Header=BB68_133 Depth=2
	v_mul_f64 v[3:4], v[41:42], 0.5
	v_mul_f64 v[5:6], v[41:42], -0.5
                                        ; implicit-def: $vgpr47_vgpr48
                                        ; implicit-def: $vgpr43_vgpr44
                                        ; implicit-def: $vgpr39_vgpr40
                                        ; implicit-def: $vgpr45_vgpr46
.LBB68_187:                             ;   in Loop: Header=BB68_133 Depth=2
	s_andn2_saveexec_b64 s[72:73], s[72:73]
	s_cbranch_execz .LBB68_189
; %bb.188:                              ;   in Loop: Header=BB68_133 Depth=2
	v_add_f64 v[0:1], v[47:48], v[41:42]
	v_mul_f64 v[3:4], v[0:1], 0.5
	v_div_scale_f64 v[0:1], s[16:17], v[3:4], v[3:4], v[43:44]
	v_rcp_f64_e32 v[5:6], v[0:1]
	v_fma_f64 v[15:16], -v[0:1], v[5:6], 1.0
	v_fma_f64 v[5:6], v[5:6], v[15:16], v[5:6]
	v_fma_f64 v[15:16], -v[0:1], v[5:6], 1.0
	v_fma_f64 v[5:6], v[5:6], v[15:16], v[5:6]
	v_div_scale_f64 v[15:16], vcc, v[43:44], v[3:4], v[43:44]
	v_mul_f64 v[17:18], v[15:16], v[5:6]
	v_fma_f64 v[0:1], -v[0:1], v[17:18], v[15:16]
	s_nop 1
	v_div_fmas_f64 v[0:1], v[0:1], v[5:6], v[17:18]
	v_div_scale_f64 v[5:6], s[16:17], v[3:4], v[3:4], v[39:40]
	v_div_fixup_f64 v[0:1], v[0:1], v[3:4], v[43:44]
	v_rcp_f64_e32 v[15:16], v[5:6]
	v_fma_f64 v[17:18], -v[5:6], v[15:16], 1.0
	v_fma_f64 v[15:16], v[15:16], v[17:18], v[15:16]
	v_fma_f64 v[17:18], -v[5:6], v[15:16], 1.0
	v_fma_f64 v[15:16], v[15:16], v[17:18], v[15:16]
	v_div_scale_f64 v[17:18], vcc, v[39:40], v[3:4], v[39:40]
	v_mul_f64 v[43:44], v[17:18], v[15:16]
	v_fma_f64 v[5:6], -v[5:6], v[43:44], v[17:18]
	s_nop 1
	v_div_fmas_f64 v[5:6], v[5:6], v[15:16], v[43:44]
	v_div_fixup_f64 v[5:6], v[5:6], v[3:4], v[39:40]
	v_mul_f64 v[5:6], v[39:40], v[5:6]
	v_fma_f64 v[5:6], v[45:46], v[0:1], -v[5:6]
.LBB68_189:                             ;   in Loop: Header=BB68_133 Depth=2
	s_or_b64 exec, exec, s[72:73]
                                        ; implicit-def: $vgpr47_vgpr48
                                        ; implicit-def: $vgpr43_vgpr44
                                        ; implicit-def: $vgpr39_vgpr40
                                        ; implicit-def: $vgpr45_vgpr46
.LBB68_190:                             ;   in Loop: Header=BB68_133 Depth=2
	s_or_saveexec_b64 s[6:7], s[6:7]
	v_mov_b32_e32 v10, 1
	s_xor_b64 exec, exec, s[6:7]
	s_cbranch_execz .LBB68_192
; %bb.191:                              ;   in Loop: Header=BB68_133 Depth=2
	v_add_f64 v[0:1], v[47:48], -v[41:42]
	v_mov_b32_e32 v10, -1
	v_mul_f64 v[3:4], v[0:1], 0.5
	v_div_scale_f64 v[0:1], s[16:17], v[3:4], v[3:4], v[43:44]
	v_rcp_f64_e32 v[5:6], v[0:1]
	v_fma_f64 v[15:16], -v[0:1], v[5:6], 1.0
	v_fma_f64 v[5:6], v[5:6], v[15:16], v[5:6]
	v_fma_f64 v[15:16], -v[0:1], v[5:6], 1.0
	v_fma_f64 v[5:6], v[5:6], v[15:16], v[5:6]
	v_div_scale_f64 v[15:16], vcc, v[43:44], v[3:4], v[43:44]
	v_mul_f64 v[17:18], v[15:16], v[5:6]
	v_fma_f64 v[0:1], -v[0:1], v[17:18], v[15:16]
	s_nop 1
	v_div_fmas_f64 v[0:1], v[0:1], v[5:6], v[17:18]
	v_div_scale_f64 v[5:6], s[16:17], v[3:4], v[3:4], v[39:40]
	v_div_fixup_f64 v[0:1], v[0:1], v[3:4], v[43:44]
	v_rcp_f64_e32 v[15:16], v[5:6]
	v_fma_f64 v[17:18], -v[5:6], v[15:16], 1.0
	v_fma_f64 v[15:16], v[15:16], v[17:18], v[15:16]
	v_fma_f64 v[17:18], -v[5:6], v[15:16], 1.0
	v_fma_f64 v[15:16], v[15:16], v[17:18], v[15:16]
	v_div_scale_f64 v[17:18], vcc, v[39:40], v[3:4], v[39:40]
	v_mul_f64 v[43:44], v[17:18], v[15:16]
	v_fma_f64 v[5:6], -v[5:6], v[43:44], v[17:18]
	s_nop 1
	v_div_fmas_f64 v[5:6], v[5:6], v[15:16], v[43:44]
	v_div_fixup_f64 v[5:6], v[5:6], v[3:4], v[39:40]
	v_mul_f64 v[5:6], v[39:40], v[5:6]
	v_fma_f64 v[5:6], v[45:46], v[0:1], -v[5:6]
.LBB68_192:                             ;   in Loop: Header=BB68_133 Depth=2
	s_or_b64 exec, exec, s[6:7]
	v_cmp_nle_f64_e64 s[6:7], 0, v[37:38]
	v_xor_b32_e32 v0, 0x80000000, v42
                                        ; implicit-def: $vgpr39_vgpr40
	v_cndmask_b32_e64 v42, v42, v0, s[6:7]
	v_add_f64 v[37:38], v[37:38], v[41:42]
                                        ; implicit-def: $vgpr41_vgpr42
	v_cmp_ngt_f64_e64 s[16:17], |v[37:38]|, |v[35:36]|
	s_and_saveexec_b64 s[72:73], s[16:17]
	s_xor_b64 s[72:73], exec, s[72:73]
	s_cbranch_execz .LBB68_196
; %bb.193:                              ;   in Loop: Header=BB68_133 Depth=2
	v_cmp_neq_f64_e32 vcc, 0, v[35:36]
	v_mov_b32_e32 v39, 0
	v_mov_b32_e32 v41, 0
	v_mov_b32_e32 v40, 0
	v_mov_b32_e32 v42, 0x3ff00000
	s_and_saveexec_b64 s[74:75], vcc
	s_cbranch_execz .LBB68_195
; %bb.194:                              ;   in Loop: Header=BB68_133 Depth=2
	v_div_scale_f64 v[0:1], s[16:17], v[35:36], v[35:36], -v[37:38]
	v_rcp_f64_e32 v[15:16], v[0:1]
	v_fma_f64 v[17:18], -v[0:1], v[15:16], 1.0
	v_fma_f64 v[15:16], v[15:16], v[17:18], v[15:16]
	v_div_scale_f64 v[17:18], vcc, -v[37:38], v[35:36], -v[37:38]
	v_fma_f64 v[39:40], -v[0:1], v[15:16], 1.0
	v_fma_f64 v[15:16], v[15:16], v[39:40], v[15:16]
	v_mul_f64 v[39:40], v[17:18], v[15:16]
	v_fma_f64 v[0:1], -v[0:1], v[39:40], v[17:18]
	v_div_fmas_f64 v[0:1], v[0:1], v[15:16], v[39:40]
	v_div_fixup_f64 v[0:1], v[0:1], v[35:36], -v[37:38]
	v_fma_f64 v[15:16], v[0:1], v[0:1], 1.0
	v_cmp_gt_f64_e32 vcc, s[64:65], v[15:16]
	v_cndmask_b32_e32 v17, 0, v60, vcc
	v_ldexp_f64 v[15:16], v[15:16], v17
	v_cndmask_b32_e32 v30, 0, v61, vcc
	v_rsq_f64_e32 v[17:18], v[15:16]
	v_cmp_class_f64_e32 vcc, v[15:16], v59
	v_mul_f64 v[35:36], v[15:16], v[17:18]
	v_mul_f64 v[17:18], v[17:18], 0.5
	v_fma_f64 v[37:38], -v[17:18], v[35:36], 0.5
	v_fma_f64 v[35:36], v[35:36], v[37:38], v[35:36]
	v_fma_f64 v[17:18], v[17:18], v[37:38], v[17:18]
	v_fma_f64 v[37:38], -v[35:36], v[35:36], v[15:16]
	v_fma_f64 v[35:36], v[37:38], v[17:18], v[35:36]
	v_fma_f64 v[37:38], -v[35:36], v[35:36], v[15:16]
	v_fma_f64 v[17:18], v[37:38], v[17:18], v[35:36]
	v_ldexp_f64 v[17:18], v[17:18], v30
	v_cndmask_b32_e32 v16, v18, v16, vcc
	v_cndmask_b32_e32 v15, v17, v15, vcc
	v_div_scale_f64 v[17:18], s[16:17], v[15:16], v[15:16], 1.0
	v_div_scale_f64 v[39:40], vcc, 1.0, v[15:16], 1.0
	v_rcp_f64_e32 v[35:36], v[17:18]
	v_fma_f64 v[37:38], -v[17:18], v[35:36], 1.0
	v_fma_f64 v[35:36], v[35:36], v[37:38], v[35:36]
	v_fma_f64 v[37:38], -v[17:18], v[35:36], 1.0
	v_fma_f64 v[35:36], v[35:36], v[37:38], v[35:36]
	v_mul_f64 v[37:38], v[39:40], v[35:36]
	v_fma_f64 v[17:18], -v[17:18], v[37:38], v[39:40]
	v_div_fmas_f64 v[17:18], v[17:18], v[35:36], v[37:38]
	v_div_fixup_f64 v[41:42], v[17:18], v[15:16], 1.0
	v_mul_f64 v[39:40], v[0:1], v[41:42]
.LBB68_195:                             ;   in Loop: Header=BB68_133 Depth=2
	s_or_b64 exec, exec, s[74:75]
                                        ; implicit-def: $vgpr37_vgpr38
                                        ; implicit-def: $vgpr35_vgpr36
.LBB68_196:                             ;   in Loop: Header=BB68_133 Depth=2
	s_andn2_saveexec_b64 s[72:73], s[72:73]
	s_cbranch_execz .LBB68_198
; %bb.197:                              ;   in Loop: Header=BB68_133 Depth=2
	v_div_scale_f64 v[0:1], s[16:17], v[37:38], v[37:38], -v[35:36]
	v_rcp_f64_e32 v[15:16], v[0:1]
	v_fma_f64 v[17:18], -v[0:1], v[15:16], 1.0
	v_fma_f64 v[15:16], v[15:16], v[17:18], v[15:16]
	v_div_scale_f64 v[17:18], vcc, -v[35:36], v[37:38], -v[35:36]
	v_fma_f64 v[39:40], -v[0:1], v[15:16], 1.0
	v_fma_f64 v[15:16], v[15:16], v[39:40], v[15:16]
	v_mul_f64 v[39:40], v[17:18], v[15:16]
	v_fma_f64 v[0:1], -v[0:1], v[39:40], v[17:18]
	v_div_fmas_f64 v[0:1], v[0:1], v[15:16], v[39:40]
	v_div_fixup_f64 v[0:1], v[0:1], v[37:38], -v[35:36]
	v_fma_f64 v[15:16], v[0:1], v[0:1], 1.0
	v_cmp_gt_f64_e32 vcc, s[64:65], v[15:16]
	v_cndmask_b32_e32 v17, 0, v60, vcc
	v_ldexp_f64 v[15:16], v[15:16], v17
	v_cndmask_b32_e32 v30, 0, v61, vcc
	v_rsq_f64_e32 v[17:18], v[15:16]
	v_cmp_class_f64_e32 vcc, v[15:16], v59
	v_mul_f64 v[35:36], v[15:16], v[17:18]
	v_mul_f64 v[17:18], v[17:18], 0.5
	v_fma_f64 v[37:38], -v[17:18], v[35:36], 0.5
	v_fma_f64 v[35:36], v[35:36], v[37:38], v[35:36]
	v_fma_f64 v[17:18], v[17:18], v[37:38], v[17:18]
	v_fma_f64 v[37:38], -v[35:36], v[35:36], v[15:16]
	v_fma_f64 v[35:36], v[37:38], v[17:18], v[35:36]
	v_fma_f64 v[37:38], -v[35:36], v[35:36], v[15:16]
	v_fma_f64 v[17:18], v[37:38], v[17:18], v[35:36]
	v_ldexp_f64 v[17:18], v[17:18], v30
	v_cndmask_b32_e32 v16, v18, v16, vcc
	v_cndmask_b32_e32 v15, v17, v15, vcc
	v_div_scale_f64 v[17:18], s[16:17], v[15:16], v[15:16], 1.0
	v_div_scale_f64 v[39:40], vcc, 1.0, v[15:16], 1.0
	v_rcp_f64_e32 v[35:36], v[17:18]
	v_fma_f64 v[37:38], -v[17:18], v[35:36], 1.0
	v_fma_f64 v[35:36], v[35:36], v[37:38], v[35:36]
	v_fma_f64 v[37:38], -v[17:18], v[35:36], 1.0
	v_fma_f64 v[35:36], v[35:36], v[37:38], v[35:36]
	v_mul_f64 v[37:38], v[39:40], v[35:36]
	v_fma_f64 v[17:18], -v[17:18], v[37:38], v[39:40]
	v_div_fmas_f64 v[17:18], v[17:18], v[35:36], v[37:38]
	v_div_fixup_f64 v[39:40], v[17:18], v[15:16], 1.0
	v_mul_f64 v[41:42], v[0:1], v[39:40]
.LBB68_198:                             ;   in Loop: Header=BB68_133 Depth=2
	s_or_b64 exec, exec, s[72:73]
	v_cndmask_b32_e64 v0, 1, -1, s[6:7]
	v_xor_b32_e32 v1, 0x80000000, v40
	v_cmp_eq_u32_e32 vcc, v10, v0
	v_cndmask_b32_e32 v1, v42, v1, vcc
	v_cndmask_b32_e32 v0, v41, v39, vcc
	;; [unrolled: 1-line block ×4, first 2 shown]
	v_mov_b32_e32 v10, s66
	v_add_co_u32_e32 v17, vcc, s95, v33
	v_addc_co_u32_e32 v18, vcc, v10, v34, vcc
	global_store_dwordx2 v[17:18], v[0:1], off
	v_mov_b32_e32 v1, s51
	v_add_co_u32_e32 v0, vcc, s50, v17
	v_addc_co_u32_e32 v1, vcc, v18, v1, vcc
	global_store_dwordx2 v[0:1], v[15:16], off offset:-8
	global_store_dwordx4 v[28:29], v[3:6], off offset:-8
	v_mov_b32_e32 v1, s92
	v_add_co_u32_e32 v0, vcc, s14, v31
	v_addc_co_u32_e32 v1, vcc, v1, v32, vcc
	v_mov_b32_e32 v10, v9
	global_store_dwordx2 v[0:1], v[9:10], off offset:-8
	v_add_u32_e32 v0, -2, v27
	ds_write_b32 v9, v0 offset:16
	s_or_b64 exec, exec, s[70:71]
                                        ; implicit-def: $vgpr4
.LBB68_199:                             ;   in Loop: Header=BB68_133 Depth=2
	s_andn2_saveexec_b64 s[6:7], s[68:69]
.LBB68_200:                             ;   in Loop: Header=BB68_133 Depth=2
	ds_write_b32 v9, v4 offset:16
.LBB68_201:                             ;   in Loop: Header=BB68_133 Depth=2
	s_or_b64 exec, exec, s[6:7]
.LBB68_202:                             ;   in Loop: Header=BB68_133 Depth=2
	s_or_b64 exec, exec, s[8:9]
	s_waitcnt vmcnt(0) lgkmcnt(0)
	s_barrier
	ds_read_b64 v[0:1], v9 offset:16
	s_waitcnt lgkmcnt(0)
	v_readfirstlane_b32 s8, v1
	v_cmp_eq_u32_e32 vcc, s8, v0
	v_mov_b32_e32 v27, s8
	s_cbranch_vccnz .LBB68_132
; %bb.203:                              ;   in Loop: Header=BB68_133 Depth=2
	s_and_saveexec_b64 s[6:7], s[2:3]
	s_cbranch_execz .LBB68_131
; %bb.204:                              ;   in Loop: Header=BB68_133 Depth=2
	ds_read_b32 v0, v9 offset:28
	s_ashr_i32 s9, s8, 31
	s_lshl_b64 s[68:69], s[8:9], 3
	s_mul_i32 s16, s8, s15
	v_mov_b32_e32 v29, v7
	s_waitcnt lgkmcnt(0)
	v_readfirstlane_b32 s9, v0
	s_sub_i32 s27, s9, s8
	s_add_u32 s8, s95, s68
	s_addc_u32 s9, s66, s69
	s_ashr_i32 s17, s16, 31
	s_lshl_b64 s[16:17], s[16:17], 4
	s_add_u32 s41, s93, s16
	s_addc_u32 s62, s94, s17
	s_cmp_gt_i32 s27, 0
	s_mul_hi_i32 s71, s27, s46
	s_mul_i32 s70, s27, s46
	s_cselect_b64 s[68:69], -1, 0
	s_lshl_b64 s[70:71], s[70:71], 4
	s_add_u32 s74, s41, s70
	v_mov_b32_e32 v0, s17
	v_add_co_u32_e32 v27, vcc, s16, v8
	s_addc_u32 s75, s62, s71
	v_addc_co_u32_e32 v28, vcc, v58, v0, vcc
	s_mov_b64 s[70:71], 0
	s_branch .LBB68_206
.LBB68_205:                             ;   in Loop: Header=BB68_206 Depth=3
	v_mov_b32_e32 v1, s75
	v_add_co_u32_e32 v0, vcc, s74, v30
	v_addc_co_u32_e32 v1, vcc, v1, v31, vcc
	v_add_u32_e32 v29, s36, v29
	v_cmp_le_i32_e32 vcc, s10, v29
	s_waitcnt vmcnt(0)
	global_store_dwordx4 v[0:1], v[3:6], off
	v_mov_b32_e32 v0, s61
	s_or_b64 s[70:71], vcc, s[70:71]
	v_add_co_u32_e32 v27, vcc, s60, v27
	v_addc_co_u32_e32 v28, vcc, v28, v0, vcc
	s_andn2_b64 exec, exec, s[70:71]
	s_cbranch_execz .LBB68_131
.LBB68_206:                             ;   Parent Loop BB68_7 Depth=1
                                        ;     Parent Loop BB68_133 Depth=2
                                        ; =>    This Loop Header: Depth=3
                                        ;         Child Loop BB68_207 Depth 4
	v_ashrrev_i32_e32 v30, 31, v29
	v_lshlrev_b64 v[30:31], 4, v[29:30]
	v_mov_b32_e32 v1, s62
	v_add_co_u32_e32 v0, vcc, s41, v30
	v_addc_co_u32_e32 v1, vcc, v1, v31, vcc
	global_load_dwordx4 v[3:6], v[0:1], off
	v_mov_b32_e32 v33, v28
	s_andn2_b64 vcc, exec, s[68:69]
	s_mov_b64 s[72:73], s[8:9]
	v_mov_b32_e32 v32, v27
	s_mov_b32 s76, s27
	s_cbranch_vccnz .LBB68_205
.LBB68_207:                             ;   Parent Loop BB68_7 Depth=1
                                        ;     Parent Loop BB68_133 Depth=2
                                        ;       Parent Loop BB68_206 Depth=3
                                        ; =>      This Inner Loop Header: Depth=4
	v_mov_b32_e32 v1, s59
	v_add_co_u32_e32 v0, vcc, s58, v32
	s_add_u32 s16, s72, s11
	v_addc_co_u32_e32 v1, vcc, v33, v1, vcc
	s_addc_u32 s17, s73, s55
	global_load_dwordx4 v[34:37], v[0:1], off offset:-8
	global_load_dwordx2 v[15:16], v9, s[16:17]
	global_load_dwordx2 v[17:18], v9, s[72:73]
	s_add_i32 s76, s76, -1
	s_add_u32 s72, s72, 8
	s_addc_u32 s73, s73, 0
	s_cmp_eq_u32 s76, 0
	s_waitcnt vmcnt(1)
	v_mul_f64 v[38:39], v[15:16], v[34:35]
	v_mul_f64 v[40:41], v[15:16], v[36:37]
	;; [unrolled: 1-line block ×4, first 2 shown]
	s_waitcnt vmcnt(0)
	v_fma_f64 v[38:39], v[3:4], v[17:18], v[38:39]
	v_fma_f64 v[40:41], v[5:6], v[17:18], v[40:41]
	v_fma_f64 v[3:4], v[17:18], v[34:35], -v[42:43]
	v_fma_f64 v[5:6], v[17:18], v[36:37], -v[15:16]
	global_store_dwordx4 v[32:33], v[38:41], off offset:-8
	v_mov_b32_e32 v33, v1
	v_mov_b32_e32 v32, v0
	s_cbranch_scc0 .LBB68_207
	s_branch .LBB68_205
.LBB68_208:                             ;   in Loop: Header=BB68_133 Depth=2
	s_or_b64 exec, exec, s[70:71]
                                        ; implicit-def: $vgpr4
	s_andn2_saveexec_b64 s[6:7], s[68:69]
	s_cbranch_execnz .LBB68_200
	s_branch .LBB68_201
.LBB68_209:                             ;   in Loop: Header=BB68_7 Depth=1
	s_waitcnt vmcnt(0)
	buffer_store_dword v28, off, s[96:99], 0 ; 4-byte Folded Spill
	buffer_store_dword v31, off, s[96:99], 0 offset:4 ; 4-byte Folded Spill
	s_nop 0
	buffer_store_dword v32, off, s[96:99], 0 offset:8 ; 4-byte Folded Spill
	buffer_store_dword v33, off, s[96:99], 0 offset:12 ; 4-byte Folded Spill
	s_nop 0
	buffer_store_dword v34, off, s[96:99], 0 offset:16 ; 4-byte Folded Spill
.LBB68_210:                             ;   in Loop: Header=BB68_7 Depth=1
	s_waitcnt vmcnt(0)
	s_barrier
	ds_read_b64 v[3:4], v9 offset:8
	s_waitcnt lgkmcnt(0)
	v_cmp_nlt_f64_e32 vcc, s[44:45], v[3:4]
	s_cbranch_vccnz .LBB68_217
; %bb.211:                              ;   in Loop: Header=BB68_7 Depth=1
	v_div_scale_f64 v[0:1], s[6:7], v[3:4], v[3:4], s[44:45]
	v_div_scale_f64 v[17:18], vcc, s[44:45], v[3:4], s[44:45]
	ds_read2_b32 v[27:28], v9 offset0:7 offset1:10
	v_rcp_f64_e32 v[5:6], v[0:1]
	v_fma_f64 v[15:16], -v[0:1], v[5:6], 1.0
	v_fma_f64 v[5:6], v[5:6], v[15:16], v[5:6]
	v_fma_f64 v[15:16], -v[0:1], v[5:6], 1.0
	v_fma_f64 v[5:6], v[5:6], v[15:16], v[5:6]
	v_mul_f64 v[15:16], v[17:18], v[5:6]
	v_fma_f64 v[0:1], -v[0:1], v[15:16], v[17:18]
	v_div_fmas_f64 v[0:1], v[0:1], v[5:6], v[15:16]
	v_div_fixup_f64 v[5:6], v[0:1], v[3:4], s[44:45]
	s_and_saveexec_b64 s[6:7], s[0:1]
	s_cbranch_execz .LBB68_213
; %bb.212:                              ;   in Loop: Header=BB68_7 Depth=1
	s_waitcnt lgkmcnt(0)
	v_ashrrev_i32_e32 v1, 31, v28
	v_mov_b32_e32 v0, v28
	v_lshlrev_b64 v[0:1], 3, v[0:1]
	v_mov_b32_e32 v10, s23
	v_add_co_u32_e32 v0, vcc, s22, v0
	v_addc_co_u32_e32 v1, vcc, v10, v1, vcc
	global_load_dwordx2 v[15:16], v[0:1], off
	s_waitcnt vmcnt(0)
	v_mul_f64 v[15:16], v[5:6], v[15:16]
	global_store_dwordx2 v[0:1], v[15:16], off
.LBB68_213:                             ;   in Loop: Header=BB68_7 Depth=1
	s_or_b64 exec, exec, s[6:7]
	s_waitcnt lgkmcnt(0)
	v_add_u32_e32 v29, v27, v7
	v_cmp_lt_i32_e32 vcc, v29, v28
	s_and_saveexec_b64 s[6:7], vcc
	s_cbranch_execz .LBB68_216
; %bb.214:                              ;   in Loop: Header=BB68_7 Depth=1
	v_ashrrev_i32_e32 v30, 31, v29
	v_lshlrev_b64 v[30:31], 3, v[29:30]
	s_mov_b64 s[8:9], 0
.LBB68_215:                             ;   Parent Loop BB68_7 Depth=1
                                        ; =>  This Inner Loop Header: Depth=2
	v_mov_b32_e32 v1, s23
	v_add_co_u32_e32 v0, vcc, s22, v30
	v_addc_co_u32_e32 v1, vcc, v1, v31, vcc
	global_load_dwordx2 v[15:16], v[0:1], off
	v_mov_b32_e32 v10, s92
	v_add_co_u32_e32 v17, vcc, s14, v30
	v_addc_co_u32_e32 v18, vcc, v10, v31, vcc
	v_mov_b32_e32 v10, s49
	v_add_co_u32_e32 v30, vcc, s48, v30
	v_add_u32_e32 v29, s36, v29
	v_addc_co_u32_e32 v31, vcc, v31, v10, vcc
	v_cmp_ge_i32_e32 vcc, v29, v28
	s_or_b64 s[8:9], vcc, s[8:9]
	s_waitcnt vmcnt(0)
	v_mul_f64 v[15:16], v[5:6], v[15:16]
	global_store_dwordx2 v[0:1], v[15:16], off
	global_load_dwordx2 v[0:1], v[17:18], off
	s_waitcnt vmcnt(0)
	v_mul_f64 v[0:1], v[5:6], v[0:1]
	global_store_dwordx2 v[17:18], v[0:1], off
	s_andn2_b64 exec, exec, s[8:9]
	s_cbranch_execnz .LBB68_215
.LBB68_216:                             ;   in Loop: Header=BB68_7 Depth=1
	s_or_b64 exec, exec, s[6:7]
.LBB68_217:                             ;   in Loop: Header=BB68_7 Depth=1
	v_cmp_ngt_f64_e32 vcc, s[30:31], v[3:4]
	s_cbranch_vccnz .LBB68_5
; %bb.218:                              ;   in Loop: Header=BB68_7 Depth=1
	v_div_scale_f64 v[0:1], s[6:7], v[3:4], v[3:4], s[30:31]
	v_div_scale_f64 v[17:18], vcc, s[30:31], v[3:4], s[30:31]
	v_rcp_f64_e32 v[5:6], v[0:1]
	v_fma_f64 v[15:16], -v[0:1], v[5:6], 1.0
	v_fma_f64 v[5:6], v[5:6], v[15:16], v[5:6]
	v_fma_f64 v[15:16], -v[0:1], v[5:6], 1.0
	v_fma_f64 v[5:6], v[5:6], v[15:16], v[5:6]
	v_mul_f64 v[15:16], v[17:18], v[5:6]
	v_fma_f64 v[0:1], -v[0:1], v[15:16], v[17:18]
	v_div_fmas_f64 v[0:1], v[0:1], v[5:6], v[15:16]
	ds_read2_b32 v[5:6], v9 offset0:7 offset1:10
	v_div_fixup_f64 v[3:4], v[0:1], v[3:4], s[30:31]
	s_and_saveexec_b64 s[6:7], s[0:1]
	s_cbranch_execz .LBB68_220
; %bb.219:                              ;   in Loop: Header=BB68_7 Depth=1
	s_waitcnt lgkmcnt(0)
	v_ashrrev_i32_e32 v1, 31, v6
	v_mov_b32_e32 v0, v6
	v_lshlrev_b64 v[0:1], 3, v[0:1]
	v_mov_b32_e32 v10, s23
	v_add_co_u32_e32 v0, vcc, s22, v0
	v_addc_co_u32_e32 v1, vcc, v10, v1, vcc
	global_load_dwordx2 v[15:16], v[0:1], off
	s_waitcnt vmcnt(0)
	v_mul_f64 v[15:16], v[3:4], v[15:16]
	global_store_dwordx2 v[0:1], v[15:16], off
.LBB68_220:                             ;   in Loop: Header=BB68_7 Depth=1
	s_or_b64 exec, exec, s[6:7]
	s_waitcnt lgkmcnt(0)
	v_add_u32_e32 v27, v5, v7
	v_cmp_lt_i32_e32 vcc, v27, v6
	s_and_saveexec_b64 s[6:7], vcc
	s_cbranch_execz .LBB68_4
; %bb.221:                              ;   in Loop: Header=BB68_7 Depth=1
	v_ashrrev_i32_e32 v28, 31, v27
	v_lshlrev_b64 v[28:29], 3, v[27:28]
	s_mov_b64 s[8:9], 0
.LBB68_222:                             ;   Parent Loop BB68_7 Depth=1
                                        ; =>  This Inner Loop Header: Depth=2
	v_mov_b32_e32 v1, s23
	v_add_co_u32_e32 v0, vcc, s22, v28
	v_addc_co_u32_e32 v1, vcc, v1, v29, vcc
	global_load_dwordx2 v[15:16], v[0:1], off
	v_mov_b32_e32 v5, s92
	v_add_co_u32_e32 v17, vcc, s14, v28
	v_addc_co_u32_e32 v18, vcc, v5, v29, vcc
	v_mov_b32_e32 v5, s49
	v_add_co_u32_e32 v28, vcc, s48, v28
	v_add_u32_e32 v27, s36, v27
	v_addc_co_u32_e32 v29, vcc, v29, v5, vcc
	v_cmp_ge_i32_e32 vcc, v27, v6
	s_or_b64 s[8:9], vcc, s[8:9]
	s_waitcnt vmcnt(0)
	v_mul_f64 v[15:16], v[3:4], v[15:16]
	global_store_dwordx2 v[0:1], v[15:16], off
	global_load_dwordx2 v[0:1], v[17:18], off
	s_waitcnt vmcnt(0)
	v_mul_f64 v[0:1], v[3:4], v[0:1]
	global_store_dwordx2 v[17:18], v[0:1], off
	s_andn2_b64 exec, exec, s[8:9]
	s_cbranch_execnz .LBB68_222
	s_branch .LBB68_4
.LBB68_223:
	v_cmp_gt_i32_e32 vcc, s40, v7
	s_and_saveexec_b64 s[2:3], vcc
	s_cbranch_execz .LBB68_229
; %bb.224:
	s_lshl_b64 s[4:5], s[38:39], 2
	s_add_u32 s6, s18, s4
	s_addc_u32 s7, s19, s5
	s_lshl_b64 s[4:5], s[42:43], 3
	v_ashrrev_i32_e32 v8, 31, v7
	v_lshlrev_b64 v[1:2], 3, v[7:8]
	s_add_u32 s4, s24, s4
	s_addc_u32 s5, s25, s5
	s_ashr_i32 s37, s36, 31
	v_mov_b32_e32 v0, s5
	v_add_co_u32_e32 v3, vcc, s4, v1
	s_lshl_b64 s[8:9], s[36:37], 3
	v_addc_co_u32_e32 v4, vcc, v0, v2, vcc
	s_mov_b64 s[18:19], 0
	v_mov_b32_e32 v1, 0
	v_mov_b32_e32 v2, s9
	s_branch .LBB68_226
.LBB68_225:                             ;   in Loop: Header=BB68_226 Depth=1
	s_or_b64 exec, exec, s[24:25]
	v_add_u32_e32 v7, s36, v7
	v_cmp_le_i32_e32 vcc, s40, v7
	s_or_b64 s[18:19], vcc, s[18:19]
	v_add_co_u32_e32 v3, vcc, s8, v3
	v_addc_co_u32_e32 v4, vcc, v4, v2, vcc
	s_andn2_b64 exec, exec, s[18:19]
	s_cbranch_execz .LBB68_229
.LBB68_226:                             ; =>This Inner Loop Header: Depth=1
	global_load_dwordx2 v[5:6], v[3:4], off
	s_waitcnt vmcnt(0)
	v_cmp_neq_f64_e32 vcc, 0, v[5:6]
	s_and_saveexec_b64 s[24:25], vcc
	s_cbranch_execz .LBB68_225
; %bb.227:                              ;   in Loop: Header=BB68_226 Depth=1
	s_mov_b64 s[28:29], exec
	v_mbcnt_lo_u32_b32 v0, s28, 0
	v_mbcnt_hi_u32_b32 v0, s29, v0
	v_cmp_eq_u32_e32 vcc, 0, v0
	s_and_b64 s[4:5], exec, vcc
	s_mov_b64 exec, s[4:5]
	s_cbranch_execz .LBB68_225
; %bb.228:                              ;   in Loop: Header=BB68_226 Depth=1
	s_bcnt1_i32_b64 s4, s[28:29]
	v_mov_b32_e32 v0, s4
	global_atomic_add v1, v0, s[6:7]
	s_branch .LBB68_225
.LBB68_229:
	s_or_b64 exec, exec, s[2:3]
	s_cmp_lt_i32 s10, 2
	s_cbranch_scc1 .LBB68_242
; %bb.230:
	buffer_load_dword v0, off, s[96:99], 0 offset:28 ; 4-byte Folded Reload
	buffer_load_dword v1, off, s[96:99], 0 offset:24 ; 4-byte Folded Reload
	;; [unrolled: 1-line block ×3, first 2 shown]
	v_readlane_b32 s4, v63, 0
	v_readlane_b32 s5, v63, 1
	s_load_dwordx2 s[2:3], s[4:5], 0x4
	v_readlane_b32 s6, v63, 2
	v_readlane_b32 s7, v63, 3
	v_mov_b32_e32 v7, 0
	s_waitcnt lgkmcnt(0)
	s_lshr_b32 s2, s2, 16
	s_mul_i32 s2, s2, s3
	s_waitcnt vmcnt(2)
	v_mul_u32_u24_e32 v0, s3, v0
	s_add_u32 s3, s20, s34
	s_addc_u32 s4, s21, s35
	s_waitcnt vmcnt(1)
	v_mul_lo_u32 v1, s2, v1
	s_add_u32 s2, s3, 8
	s_addc_u32 s3, s4, 0
	v_readlane_b32 s4, v63, 4
	v_readlane_b32 s5, v63, 5
	s_lshl_b64 s[4:5], s[4:5], 4
	s_lshl_b64 s[6:7], s[6:7], 4
	s_add_u32 s4, s4, s6
	s_addc_u32 s5, s5, s7
	s_waitcnt vmcnt(0)
	v_add3_u32 v0, v1, v0, v2
	s_add_u32 s11, s12, s4
	v_lshl_add_u32 v6, v0, 4, 48
	s_addc_u32 s14, s13, s5
	s_mov_b32 s4, 1
	s_branch .LBB68_232
.LBB68_231:                             ;   in Loop: Header=BB68_232 Depth=1
	s_add_i32 s4, s4, 1
	s_add_u32 s2, s2, 8
	s_addc_u32 s3, s3, 0
	s_cmp_lg_u32 s4, s10
	s_waitcnt vmcnt(0) lgkmcnt(0)
	s_barrier
	s_cbranch_scc0 .LBB68_242
.LBB68_232:                             ; =>This Loop Header: Depth=1
                                        ;     Child Loop BB68_235 Depth 2
                                        ;     Child Loop BB68_241 Depth 2
	s_and_saveexec_b64 s[6:7], s[0:1]
	s_cbranch_execz .LBB68_239
; %bb.233:                              ;   in Loop: Header=BB68_232 Depth=1
	s_ashr_i32 s5, s4, 31
	s_add_i32 s17, s4, -1
	s_lshl_b64 s[8:9], s[4:5], 3
	s_add_u32 s8, s22, s8
	s_addc_u32 s9, s23, s9
	global_load_dwordx2 v[0:1], v7, s[8:9] offset:-8
	v_mov_b32_e32 v2, s17
	v_mov_b32_e32 v3, s17
	s_mov_b64 s[12:13], s[2:3]
	s_mov_b32 s5, s4
	s_mov_b32 s16, s17
	s_waitcnt vmcnt(0)
	ds_write2_b64 v7, v[0:1], v[2:3] offset1:2
	v_mov_b32_e32 v3, v1
	v_mov_b32_e32 v2, v0
	s_branch .LBB68_235
.LBB68_234:                             ;   in Loop: Header=BB68_235 Depth=2
	s_add_i32 s5, s5, 1
	s_add_u32 s12, s12, 8
	s_addc_u32 s13, s13, 0
	s_cmp_eq_u32 s10, s5
	s_cbranch_scc1 .LBB68_237
.LBB68_235:                             ;   Parent Loop BB68_232 Depth=1
                                        ; =>  This Inner Loop Header: Depth=2
	global_load_dwordx2 v[4:5], v7, s[12:13]
	s_waitcnt vmcnt(0)
	v_cmp_nlt_f64_e32 vcc, v[4:5], v[2:3]
	s_cbranch_vccnz .LBB68_234
; %bb.236:                              ;   in Loop: Header=BB68_235 Depth=2
	v_mov_b32_e32 v2, s5
	ds_write_b32 v7, v2 offset:20
	ds_write_b64 v7, v[4:5]
	v_mov_b32_e32 v2, v4
	s_mov_b32 s16, s5
	v_mov_b32_e32 v3, v5
	s_branch .LBB68_234
.LBB68_237:                             ;   in Loop: Header=BB68_232 Depth=1
	s_cmp_lg_u32 s16, s17
	s_cbranch_scc0 .LBB68_239
; %bb.238:                              ;   in Loop: Header=BB68_232 Depth=1
	s_ashr_i32 s17, s16, 31
	s_lshl_b64 s[12:13], s[16:17], 3
	s_add_u32 s12, s22, s12
	s_addc_u32 s13, s23, s13
	global_store_dwordx2 v7, v[0:1], s[12:13]
	global_store_dwordx2 v7, v[2:3], s[8:9] offset:-8
.LBB68_239:                             ;   in Loop: Header=BB68_232 Depth=1
	s_or_b64 exec, exec, s[6:7]
	s_waitcnt vmcnt(0) lgkmcnt(0)
	s_barrier
	ds_read_b64 v[0:1], v7 offset:16
	s_waitcnt lgkmcnt(0)
	v_readfirstlane_b32 s5, v0
	v_readfirstlane_b32 s6, v1
	s_cmp_eq_u32 s6, s5
	s_cbranch_scc1 .LBB68_231
; %bb.240:                              ;   in Loop: Header=BB68_232 Depth=1
	s_mul_i32 s6, s6, s15
	s_ashr_i32 s7, s6, 31
	s_lshl_b64 s[6:7], s[6:7], 4
	s_mul_i32 s8, s5, s15
	s_add_u32 s6, s11, s6
	s_addc_u32 s7, s14, s7
	s_ashr_i32 s9, s8, 31
	s_lshl_b64 s[8:9], s[8:9], 4
	s_add_u32 s8, s11, s8
	s_addc_u32 s9, s14, s9
	s_mov_b32 s5, s10
.LBB68_241:                             ;   Parent Loop BB68_232 Depth=1
                                        ; =>  This Inner Loop Header: Depth=2
	global_load_dwordx4 v[0:3], v7, s[6:7]
	global_load_dwordx4 v[8:11], v7, s[8:9]
	s_add_i32 s5, s5, -1
	s_waitcnt vmcnt(1)
	global_store_dwordx4 v7, v[0:3], s[8:9]
	s_waitcnt vmcnt(1)
	global_store_dwordx4 v7, v[8:11], s[6:7]
	s_add_u32 s6, s6, 16
	s_addc_u32 s7, s7, 0
	s_add_u32 s8, s8, 16
	s_addc_u32 s9, s9, 0
	s_cmp_lg_u32 s5, 0
	ds_write2_b64 v6, v[8:9], v[10:11] offset1:1
	s_cbranch_scc1 .LBB68_241
	s_branch .LBB68_231
.LBB68_242:
	s_endpgm
	.section	.rodata,"a",@progbits
	.p2align	6, 0x0
	.amdhsa_kernel _ZN9rocsolver6v33100L12steqr_kernelI19rocblas_complex_numIdEdPS3_EEviPT0_lS6_lT1_iilPiS6_iS5_S5_S5_
		.amdhsa_group_segment_fixed_size 16432
		.amdhsa_private_segment_fixed_size 36
		.amdhsa_kernarg_size 368
		.amdhsa_user_sgpr_count 8
		.amdhsa_user_sgpr_private_segment_buffer 1
		.amdhsa_user_sgpr_dispatch_ptr 1
		.amdhsa_user_sgpr_queue_ptr 0
		.amdhsa_user_sgpr_kernarg_segment_ptr 1
		.amdhsa_user_sgpr_dispatch_id 0
		.amdhsa_user_sgpr_flat_scratch_init 0
		.amdhsa_user_sgpr_private_segment_size 0
		.amdhsa_uses_dynamic_stack 0
		.amdhsa_system_sgpr_private_segment_wavefront_offset 1
		.amdhsa_system_sgpr_workgroup_id_x 1
		.amdhsa_system_sgpr_workgroup_id_y 1
		.amdhsa_system_sgpr_workgroup_id_z 0
		.amdhsa_system_sgpr_workgroup_info 0
		.amdhsa_system_vgpr_workitem_id 2
		.amdhsa_next_free_vgpr 64
		.amdhsa_next_free_sgpr 100
		.amdhsa_reserve_vcc 1
		.amdhsa_reserve_flat_scratch 0
		.amdhsa_float_round_mode_32 0
		.amdhsa_float_round_mode_16_64 0
		.amdhsa_float_denorm_mode_32 3
		.amdhsa_float_denorm_mode_16_64 3
		.amdhsa_dx10_clamp 1
		.amdhsa_ieee_mode 1
		.amdhsa_fp16_overflow 0
		.amdhsa_exception_fp_ieee_invalid_op 0
		.amdhsa_exception_fp_denorm_src 0
		.amdhsa_exception_fp_ieee_div_zero 0
		.amdhsa_exception_fp_ieee_overflow 0
		.amdhsa_exception_fp_ieee_underflow 0
		.amdhsa_exception_fp_ieee_inexact 0
		.amdhsa_exception_int_div_zero 0
	.end_amdhsa_kernel
	.section	.text._ZN9rocsolver6v33100L12steqr_kernelI19rocblas_complex_numIdEdPS3_EEviPT0_lS6_lT1_iilPiS6_iS5_S5_S5_,"axG",@progbits,_ZN9rocsolver6v33100L12steqr_kernelI19rocblas_complex_numIdEdPS3_EEviPT0_lS6_lT1_iilPiS6_iS5_S5_S5_,comdat
.Lfunc_end68:
	.size	_ZN9rocsolver6v33100L12steqr_kernelI19rocblas_complex_numIdEdPS3_EEviPT0_lS6_lT1_iilPiS6_iS5_S5_S5_, .Lfunc_end68-_ZN9rocsolver6v33100L12steqr_kernelI19rocblas_complex_numIdEdPS3_EEviPT0_lS6_lT1_iilPiS6_iS5_S5_S5_
                                        ; -- End function
	.set _ZN9rocsolver6v33100L12steqr_kernelI19rocblas_complex_numIdEdPS3_EEviPT0_lS6_lT1_iilPiS6_iS5_S5_S5_.num_vgpr, 64
	.set _ZN9rocsolver6v33100L12steqr_kernelI19rocblas_complex_numIdEdPS3_EEviPT0_lS6_lT1_iilPiS6_iS5_S5_S5_.num_agpr, 0
	.set _ZN9rocsolver6v33100L12steqr_kernelI19rocblas_complex_numIdEdPS3_EEviPT0_lS6_lT1_iilPiS6_iS5_S5_S5_.numbered_sgpr, 100
	.set _ZN9rocsolver6v33100L12steqr_kernelI19rocblas_complex_numIdEdPS3_EEviPT0_lS6_lT1_iilPiS6_iS5_S5_S5_.num_named_barrier, 0
	.set _ZN9rocsolver6v33100L12steqr_kernelI19rocblas_complex_numIdEdPS3_EEviPT0_lS6_lT1_iilPiS6_iS5_S5_S5_.private_seg_size, 36
	.set _ZN9rocsolver6v33100L12steqr_kernelI19rocblas_complex_numIdEdPS3_EEviPT0_lS6_lT1_iilPiS6_iS5_S5_S5_.uses_vcc, 1
	.set _ZN9rocsolver6v33100L12steqr_kernelI19rocblas_complex_numIdEdPS3_EEviPT0_lS6_lT1_iilPiS6_iS5_S5_S5_.uses_flat_scratch, 0
	.set _ZN9rocsolver6v33100L12steqr_kernelI19rocblas_complex_numIdEdPS3_EEviPT0_lS6_lT1_iilPiS6_iS5_S5_S5_.has_dyn_sized_stack, 0
	.set _ZN9rocsolver6v33100L12steqr_kernelI19rocblas_complex_numIdEdPS3_EEviPT0_lS6_lT1_iilPiS6_iS5_S5_S5_.has_recursion, 0
	.set _ZN9rocsolver6v33100L12steqr_kernelI19rocblas_complex_numIdEdPS3_EEviPT0_lS6_lT1_iilPiS6_iS5_S5_S5_.has_indirect_call, 0
	.section	.AMDGPU.csdata,"",@progbits
; Kernel info:
; codeLenInByte = 14972
; TotalNumSgprs: 104
; NumVgprs: 64
; ScratchSize: 36
; MemoryBound: 0
; FloatMode: 240
; IeeeMode: 1
; LDSByteSize: 16432 bytes/workgroup (compile time only)
; SGPRBlocks: 12
; VGPRBlocks: 15
; NumSGPRsForWavesPerEU: 104
; NumVGPRsForWavesPerEU: 64
; Occupancy: 4
; WaveLimiterHint : 0
; COMPUTE_PGM_RSRC2:SCRATCH_EN: 1
; COMPUTE_PGM_RSRC2:USER_SGPR: 8
; COMPUTE_PGM_RSRC2:TRAP_HANDLER: 0
; COMPUTE_PGM_RSRC2:TGID_X_EN: 1
; COMPUTE_PGM_RSRC2:TGID_Y_EN: 1
; COMPUTE_PGM_RSRC2:TGID_Z_EN: 0
; COMPUTE_PGM_RSRC2:TIDIG_COMP_CNT: 2
	.section	.text._ZN9rocsolver6v33100L8copy_matI19rocblas_complex_numIdEdLb0EPS3_TnNSt9enable_ifIX18rocblas_is_complexIT_EEiE4typeELi0EEEvNS0_17copymat_directionEiiT2_iilPT0_13rocblas_fill_17rocblas_diagonal_,"axG",@progbits,_ZN9rocsolver6v33100L8copy_matI19rocblas_complex_numIdEdLb0EPS3_TnNSt9enable_ifIX18rocblas_is_complexIT_EEiE4typeELi0EEEvNS0_17copymat_directionEiiT2_iilPT0_13rocblas_fill_17rocblas_diagonal_,comdat
	.globl	_ZN9rocsolver6v33100L8copy_matI19rocblas_complex_numIdEdLb0EPS3_TnNSt9enable_ifIX18rocblas_is_complexIT_EEiE4typeELi0EEEvNS0_17copymat_directionEiiT2_iilPT0_13rocblas_fill_17rocblas_diagonal_ ; -- Begin function _ZN9rocsolver6v33100L8copy_matI19rocblas_complex_numIdEdLb0EPS3_TnNSt9enable_ifIX18rocblas_is_complexIT_EEiE4typeELi0EEEvNS0_17copymat_directionEiiT2_iilPT0_13rocblas_fill_17rocblas_diagonal_
	.p2align	8
	.type	_ZN9rocsolver6v33100L8copy_matI19rocblas_complex_numIdEdLb0EPS3_TnNSt9enable_ifIX18rocblas_is_complexIT_EEiE4typeELi0EEEvNS0_17copymat_directionEiiT2_iilPT0_13rocblas_fill_17rocblas_diagonal_,@function
_ZN9rocsolver6v33100L8copy_matI19rocblas_complex_numIdEdLb0EPS3_TnNSt9enable_ifIX18rocblas_is_complexIT_EEiE4typeELi0EEEvNS0_17copymat_directionEiiT2_iilPT0_13rocblas_fill_17rocblas_diagonal_: ; @_ZN9rocsolver6v33100L8copy_matI19rocblas_complex_numIdEdLb0EPS3_TnNSt9enable_ifIX18rocblas_is_complexIT_EEiE4typeELi0EEEvNS0_17copymat_directionEiiT2_iilPT0_13rocblas_fill_17rocblas_diagonal_
; %bb.0:
	s_load_dwordx4 s[12:15], s[4:5], 0x0
	s_load_dword s0, s[4:5], 0x44
	s_waitcnt lgkmcnt(0)
	s_lshr_b32 s1, s0, 16
	s_and_b32 s0, s0, 0xffff
	s_mul_i32 s7, s7, s1
	s_mul_i32 s6, s6, s0
	v_add_u32_e32 v4, s7, v1
	v_add_u32_e32 v0, s6, v0
	v_cmp_gt_u32_e32 vcc, s13, v0
	v_cmp_gt_u32_e64 s[0:1], s14, v4
	s_and_b64 s[0:1], s[0:1], vcc
	s_and_saveexec_b64 s[2:3], s[0:1]
	s_cbranch_execz .LBB69_16
; %bb.1:
	s_load_dwordx2 s[2:3], s[4:5], 0x30
	s_mov_b32 s9, s13
	s_waitcnt lgkmcnt(0)
	s_cmpk_lt_i32 s2, 0x7a
	s_cbranch_scc1 .LBB69_4
; %bb.2:
	s_cmpk_gt_i32 s2, 0x7a
	s_cbranch_scc0 .LBB69_5
; %bb.3:
	s_cmpk_lg_i32 s2, 0x7b
	s_mov_b64 s[6:7], -1
	s_cselect_b64 s[10:11], -1, 0
	s_cbranch_execz .LBB69_6
	s_branch .LBB69_7
.LBB69_4:
	s_mov_b64 s[10:11], 0
	s_mov_b64 s[6:7], 0
	s_cbranch_execnz .LBB69_8
	s_branch .LBB69_10
.LBB69_5:
	s_mov_b64 s[6:7], 0
	s_mov_b64 s[10:11], 0
.LBB69_6:
	v_cmp_gt_u32_e32 vcc, v0, v4
	v_cmp_le_u32_e64 s[0:1], v0, v4
	s_andn2_b64 s[6:7], s[6:7], exec
	s_and_b64 s[16:17], vcc, exec
	s_andn2_b64 s[10:11], s[10:11], exec
	s_and_b64 s[0:1], s[0:1], exec
	s_or_b64 s[6:7], s[6:7], s[16:17]
	s_or_b64 s[10:11], s[10:11], s[0:1]
.LBB69_7:
	s_branch .LBB69_10
.LBB69_8:
	s_cmpk_eq_i32 s2, 0x79
	s_mov_b64 s[10:11], -1
	s_cbranch_scc0 .LBB69_10
; %bb.9:
	v_cmp_gt_u32_e32 vcc, v4, v0
	v_cmp_le_u32_e64 s[0:1], v4, v0
	s_andn2_b64 s[6:7], s[6:7], exec
	s_and_b64 s[10:11], vcc, exec
	s_or_b64 s[6:7], s[6:7], s[10:11]
	s_orn2_b64 s[10:11], s[0:1], exec
.LBB69_10:
	s_and_saveexec_b64 s[0:1], s[10:11]
; %bb.11:
	s_cmpk_eq_i32 s3, 0x83
	s_cselect_b64 s[2:3], -1, 0
	v_cmp_eq_u32_e32 vcc, v0, v4
	s_and_b64 s[2:3], s[2:3], vcc
	s_andn2_b64 s[6:7], s[6:7], exec
	s_and_b64 s[2:3], s[2:3], exec
	s_or_b64 s[6:7], s[6:7], s[2:3]
; %bb.12:
	s_or_b64 exec, exec, s[0:1]
	s_and_b64 exec, exec, s[6:7]
	s_cbranch_execz .LBB69_16
; %bb.13:
	s_load_dwordx8 s[16:23], s[4:5], 0x10
	s_ashr_i32 s4, s13, 31
	s_ashr_i32 s5, s14, 31
	s_mul_i32 s4, s4, s8
	s_waitcnt lgkmcnt(0)
	s_mul_i32 s2, s21, s8
	s_mul_hi_u32 s3, s20, s8
	s_add_i32 s3, s3, s2
	s_mul_i32 s2, s20, s8
	s_ashr_i32 s1, s18, 31
	s_lshl_b64 s[2:3], s[2:3], 4
	s_mov_b32 s0, s18
	s_add_u32 s2, s16, s2
	s_addc_u32 s3, s17, s3
	s_lshl_b64 s[0:1], s[0:1], 4
	s_add_u32 s6, s2, s0
	s_mul_hi_u32 s0, s13, s8
	s_mul_i32 s2, s13, s8
	s_addc_u32 s7, s3, s1
	s_add_i32 s0, s0, s4
	s_mul_i32 s1, s2, s5
	v_mad_u64_u32 v[2:3], s[4:5], v4, s19, v[0:1]
	s_mul_hi_u32 s3, s2, s14
	s_add_i32 s1, s3, s1
	s_mul_i32 s0, s0, s14
	s_add_i32 s1, s1, s0
	s_mul_i32 s0, s2, s14
	v_mov_b32_e32 v3, 0
	s_lshl_b64 s[0:1], s[0:1], 3
	v_lshlrev_b64 v[1:2], 4, v[2:3]
	s_add_u32 s2, s22, s0
	s_addc_u32 s3, s23, s1
	v_mov_b32_e32 v5, s7
	v_add_co_u32_e32 v1, vcc, s6, v1
	s_cmp_lg_u32 s12, 0
	v_addc_co_u32_e32 v2, vcc, v5, v2, vcc
	s_cbranch_scc0 .LBB69_17
; %bb.14:
	v_mad_u64_u32 v[5:6], s[0:1], v4, s9, v[0:1]
	v_mov_b32_e32 v6, v3
	v_mov_b32_e32 v7, s3
	v_lshlrev_b64 v[5:6], 3, v[5:6]
	v_add_co_u32_e32 v5, vcc, s2, v5
	v_addc_co_u32_e32 v6, vcc, v7, v6, vcc
	global_load_dwordx2 v[5:6], v[5:6], off
	s_waitcnt vmcnt(0)
	global_store_dwordx2 v[1:2], v[5:6], off offset:8
	s_cbranch_execnz .LBB69_16
.LBB69_15:
	global_load_dwordx2 v[1:2], v[1:2], off offset:8
	s_waitcnt vmcnt(0)
	v_mad_u64_u32 v[3:4], s[0:1], v4, s9, v[0:1]
	v_mov_b32_e32 v4, 0
	v_mov_b32_e32 v0, s3
	v_lshlrev_b64 v[3:4], 3, v[3:4]
	v_add_co_u32_e32 v3, vcc, s2, v3
	v_addc_co_u32_e32 v4, vcc, v0, v4, vcc
	global_store_dwordx2 v[3:4], v[1:2], off
.LBB69_16:
	s_endpgm
.LBB69_17:
	s_branch .LBB69_15
	.section	.rodata,"a",@progbits
	.p2align	6, 0x0
	.amdhsa_kernel _ZN9rocsolver6v33100L8copy_matI19rocblas_complex_numIdEdLb0EPS3_TnNSt9enable_ifIX18rocblas_is_complexIT_EEiE4typeELi0EEEvNS0_17copymat_directionEiiT2_iilPT0_13rocblas_fill_17rocblas_diagonal_
		.amdhsa_group_segment_fixed_size 0
		.amdhsa_private_segment_fixed_size 0
		.amdhsa_kernarg_size 312
		.amdhsa_user_sgpr_count 6
		.amdhsa_user_sgpr_private_segment_buffer 1
		.amdhsa_user_sgpr_dispatch_ptr 0
		.amdhsa_user_sgpr_queue_ptr 0
		.amdhsa_user_sgpr_kernarg_segment_ptr 1
		.amdhsa_user_sgpr_dispatch_id 0
		.amdhsa_user_sgpr_flat_scratch_init 0
		.amdhsa_user_sgpr_private_segment_size 0
		.amdhsa_uses_dynamic_stack 0
		.amdhsa_system_sgpr_private_segment_wavefront_offset 0
		.amdhsa_system_sgpr_workgroup_id_x 1
		.amdhsa_system_sgpr_workgroup_id_y 1
		.amdhsa_system_sgpr_workgroup_id_z 1
		.amdhsa_system_sgpr_workgroup_info 0
		.amdhsa_system_vgpr_workitem_id 1
		.amdhsa_next_free_vgpr 8
		.amdhsa_next_free_sgpr 24
		.amdhsa_reserve_vcc 1
		.amdhsa_reserve_flat_scratch 0
		.amdhsa_float_round_mode_32 0
		.amdhsa_float_round_mode_16_64 0
		.amdhsa_float_denorm_mode_32 3
		.amdhsa_float_denorm_mode_16_64 3
		.amdhsa_dx10_clamp 1
		.amdhsa_ieee_mode 1
		.amdhsa_fp16_overflow 0
		.amdhsa_exception_fp_ieee_invalid_op 0
		.amdhsa_exception_fp_denorm_src 0
		.amdhsa_exception_fp_ieee_div_zero 0
		.amdhsa_exception_fp_ieee_overflow 0
		.amdhsa_exception_fp_ieee_underflow 0
		.amdhsa_exception_fp_ieee_inexact 0
		.amdhsa_exception_int_div_zero 0
	.end_amdhsa_kernel
	.section	.text._ZN9rocsolver6v33100L8copy_matI19rocblas_complex_numIdEdLb0EPS3_TnNSt9enable_ifIX18rocblas_is_complexIT_EEiE4typeELi0EEEvNS0_17copymat_directionEiiT2_iilPT0_13rocblas_fill_17rocblas_diagonal_,"axG",@progbits,_ZN9rocsolver6v33100L8copy_matI19rocblas_complex_numIdEdLb0EPS3_TnNSt9enable_ifIX18rocblas_is_complexIT_EEiE4typeELi0EEEvNS0_17copymat_directionEiiT2_iilPT0_13rocblas_fill_17rocblas_diagonal_,comdat
.Lfunc_end69:
	.size	_ZN9rocsolver6v33100L8copy_matI19rocblas_complex_numIdEdLb0EPS3_TnNSt9enable_ifIX18rocblas_is_complexIT_EEiE4typeELi0EEEvNS0_17copymat_directionEiiT2_iilPT0_13rocblas_fill_17rocblas_diagonal_, .Lfunc_end69-_ZN9rocsolver6v33100L8copy_matI19rocblas_complex_numIdEdLb0EPS3_TnNSt9enable_ifIX18rocblas_is_complexIT_EEiE4typeELi0EEEvNS0_17copymat_directionEiiT2_iilPT0_13rocblas_fill_17rocblas_diagonal_
                                        ; -- End function
	.set _ZN9rocsolver6v33100L8copy_matI19rocblas_complex_numIdEdLb0EPS3_TnNSt9enable_ifIX18rocblas_is_complexIT_EEiE4typeELi0EEEvNS0_17copymat_directionEiiT2_iilPT0_13rocblas_fill_17rocblas_diagonal_.num_vgpr, 8
	.set _ZN9rocsolver6v33100L8copy_matI19rocblas_complex_numIdEdLb0EPS3_TnNSt9enable_ifIX18rocblas_is_complexIT_EEiE4typeELi0EEEvNS0_17copymat_directionEiiT2_iilPT0_13rocblas_fill_17rocblas_diagonal_.num_agpr, 0
	.set _ZN9rocsolver6v33100L8copy_matI19rocblas_complex_numIdEdLb0EPS3_TnNSt9enable_ifIX18rocblas_is_complexIT_EEiE4typeELi0EEEvNS0_17copymat_directionEiiT2_iilPT0_13rocblas_fill_17rocblas_diagonal_.numbered_sgpr, 24
	.set _ZN9rocsolver6v33100L8copy_matI19rocblas_complex_numIdEdLb0EPS3_TnNSt9enable_ifIX18rocblas_is_complexIT_EEiE4typeELi0EEEvNS0_17copymat_directionEiiT2_iilPT0_13rocblas_fill_17rocblas_diagonal_.num_named_barrier, 0
	.set _ZN9rocsolver6v33100L8copy_matI19rocblas_complex_numIdEdLb0EPS3_TnNSt9enable_ifIX18rocblas_is_complexIT_EEiE4typeELi0EEEvNS0_17copymat_directionEiiT2_iilPT0_13rocblas_fill_17rocblas_diagonal_.private_seg_size, 0
	.set _ZN9rocsolver6v33100L8copy_matI19rocblas_complex_numIdEdLb0EPS3_TnNSt9enable_ifIX18rocblas_is_complexIT_EEiE4typeELi0EEEvNS0_17copymat_directionEiiT2_iilPT0_13rocblas_fill_17rocblas_diagonal_.uses_vcc, 1
	.set _ZN9rocsolver6v33100L8copy_matI19rocblas_complex_numIdEdLb0EPS3_TnNSt9enable_ifIX18rocblas_is_complexIT_EEiE4typeELi0EEEvNS0_17copymat_directionEiiT2_iilPT0_13rocblas_fill_17rocblas_diagonal_.uses_flat_scratch, 0
	.set _ZN9rocsolver6v33100L8copy_matI19rocblas_complex_numIdEdLb0EPS3_TnNSt9enable_ifIX18rocblas_is_complexIT_EEiE4typeELi0EEEvNS0_17copymat_directionEiiT2_iilPT0_13rocblas_fill_17rocblas_diagonal_.has_dyn_sized_stack, 0
	.set _ZN9rocsolver6v33100L8copy_matI19rocblas_complex_numIdEdLb0EPS3_TnNSt9enable_ifIX18rocblas_is_complexIT_EEiE4typeELi0EEEvNS0_17copymat_directionEiiT2_iilPT0_13rocblas_fill_17rocblas_diagonal_.has_recursion, 0
	.set _ZN9rocsolver6v33100L8copy_matI19rocblas_complex_numIdEdLb0EPS3_TnNSt9enable_ifIX18rocblas_is_complexIT_EEiE4typeELi0EEEvNS0_17copymat_directionEiiT2_iilPT0_13rocblas_fill_17rocblas_diagonal_.has_indirect_call, 0
	.section	.AMDGPU.csdata,"",@progbits
; Kernel info:
; codeLenInByte = 548
; TotalNumSgprs: 28
; NumVgprs: 8
; ScratchSize: 0
; MemoryBound: 0
; FloatMode: 240
; IeeeMode: 1
; LDSByteSize: 0 bytes/workgroup (compile time only)
; SGPRBlocks: 3
; VGPRBlocks: 1
; NumSGPRsForWavesPerEU: 28
; NumVGPRsForWavesPerEU: 8
; Occupancy: 10
; WaveLimiterHint : 0
; COMPUTE_PGM_RSRC2:SCRATCH_EN: 0
; COMPUTE_PGM_RSRC2:USER_SGPR: 6
; COMPUTE_PGM_RSRC2:TRAP_HANDLER: 0
; COMPUTE_PGM_RSRC2:TGID_X_EN: 1
; COMPUTE_PGM_RSRC2:TGID_Y_EN: 1
; COMPUTE_PGM_RSRC2:TGID_Z_EN: 1
; COMPUTE_PGM_RSRC2:TIDIG_COMP_CNT: 1
	.section	.text._ZN9rocsolver6v33100L8set_zeroI19rocblas_complex_numIdEPS3_EEviiT0_iil13rocblas_fill_,"axG",@progbits,_ZN9rocsolver6v33100L8set_zeroI19rocblas_complex_numIdEPS3_EEviiT0_iil13rocblas_fill_,comdat
	.globl	_ZN9rocsolver6v33100L8set_zeroI19rocblas_complex_numIdEPS3_EEviiT0_iil13rocblas_fill_ ; -- Begin function _ZN9rocsolver6v33100L8set_zeroI19rocblas_complex_numIdEPS3_EEviiT0_iil13rocblas_fill_
	.p2align	8
	.type	_ZN9rocsolver6v33100L8set_zeroI19rocblas_complex_numIdEPS3_EEviiT0_iil13rocblas_fill_,@function
_ZN9rocsolver6v33100L8set_zeroI19rocblas_complex_numIdEPS3_EEviiT0_iil13rocblas_fill_: ; @_ZN9rocsolver6v33100L8set_zeroI19rocblas_complex_numIdEPS3_EEviiT0_iil13rocblas_fill_
; %bb.0:
	s_load_dword s2, s[4:5], 0x34
	s_load_dwordx2 s[0:1], s[4:5], 0x0
	s_waitcnt lgkmcnt(0)
	s_lshr_b32 s3, s2, 16
	s_and_b32 s2, s2, 0xffff
	s_mul_i32 s6, s6, s2
	s_mul_i32 s7, s7, s3
	v_add_u32_e32 v0, s6, v0
	v_add_u32_e32 v1, s7, v1
	v_cmp_gt_u32_e32 vcc, s0, v0
	v_cmp_gt_u32_e64 s[0:1], s1, v1
	s_and_b64 s[0:1], vcc, s[0:1]
	s_and_saveexec_b64 s[2:3], s[0:1]
	s_cbranch_execz .LBB70_12
; %bb.1:
	s_load_dword s6, s[4:5], 0x20
	s_waitcnt lgkmcnt(0)
	s_cmpk_lt_i32 s6, 0x7a
	s_cbranch_scc1 .LBB70_4
; %bb.2:
	s_cmpk_gt_i32 s6, 0x7a
	s_cbranch_scc0 .LBB70_5
; %bb.3:
	s_cmpk_eq_i32 s6, 0x7b
	s_cselect_b64 s[0:1], -1, 0
	s_cbranch_execz .LBB70_6
	s_branch .LBB70_7
.LBB70_4:
	s_mov_b64 s[0:1], 0
	s_cbranch_execnz .LBB70_8
	s_branch .LBB70_10
.LBB70_5:
	s_mov_b64 s[0:1], 0
.LBB70_6:
	v_cmp_gt_u32_e32 vcc, v1, v0
	s_andn2_b64 s[0:1], s[0:1], exec
	s_and_b64 s[2:3], vcc, exec
	s_or_b64 s[0:1], s[0:1], s[2:3]
.LBB70_7:
	s_branch .LBB70_10
.LBB70_8:
	s_cmpk_eq_i32 s6, 0x79
	s_cbranch_scc0 .LBB70_10
; %bb.9:
	v_cmp_gt_u32_e32 vcc, v0, v1
	s_andn2_b64 s[0:1], s[0:1], exec
	s_and_b64 s[2:3], vcc, exec
	s_or_b64 s[0:1], s[0:1], s[2:3]
.LBB70_10:
	s_and_b64 exec, exec, s[0:1]
	s_cbranch_execz .LBB70_12
; %bb.11:
	s_load_dwordx4 s[0:3], s[4:5], 0x8
	s_load_dwordx2 s[6:7], s[4:5], 0x18
	s_waitcnt lgkmcnt(0)
	s_ashr_i32 s5, s2, 31
	s_mov_b32 s4, s2
	s_mul_i32 s2, s7, s8
	s_mul_hi_u32 s7, s6, s8
	s_add_i32 s7, s7, s2
	s_mul_i32 s6, s6, s8
	v_mad_u64_u32 v[0:1], s[2:3], v1, s3, v[0:1]
	s_lshl_b64 s[6:7], s[6:7], 4
	s_add_u32 s6, s0, s6
	s_addc_u32 s7, s1, s7
	s_lshl_b64 s[0:1], s[4:5], 4
	v_mov_b32_e32 v1, 0
	s_add_u32 s0, s6, s0
	v_lshlrev_b64 v[2:3], 4, v[0:1]
	s_addc_u32 s1, s7, s1
	v_mov_b32_e32 v0, s1
	v_add_co_u32_e32 v4, vcc, s0, v2
	v_addc_co_u32_e32 v5, vcc, v0, v3, vcc
	v_mov_b32_e32 v0, v1
	v_mov_b32_e32 v2, v1
	;; [unrolled: 1-line block ×3, first 2 shown]
	global_store_dwordx4 v[4:5], v[0:3], off
.LBB70_12:
	s_endpgm
	.section	.rodata,"a",@progbits
	.p2align	6, 0x0
	.amdhsa_kernel _ZN9rocsolver6v33100L8set_zeroI19rocblas_complex_numIdEPS3_EEviiT0_iil13rocblas_fill_
		.amdhsa_group_segment_fixed_size 0
		.amdhsa_private_segment_fixed_size 0
		.amdhsa_kernarg_size 296
		.amdhsa_user_sgpr_count 6
		.amdhsa_user_sgpr_private_segment_buffer 1
		.amdhsa_user_sgpr_dispatch_ptr 0
		.amdhsa_user_sgpr_queue_ptr 0
		.amdhsa_user_sgpr_kernarg_segment_ptr 1
		.amdhsa_user_sgpr_dispatch_id 0
		.amdhsa_user_sgpr_flat_scratch_init 0
		.amdhsa_user_sgpr_private_segment_size 0
		.amdhsa_uses_dynamic_stack 0
		.amdhsa_system_sgpr_private_segment_wavefront_offset 0
		.amdhsa_system_sgpr_workgroup_id_x 1
		.amdhsa_system_sgpr_workgroup_id_y 1
		.amdhsa_system_sgpr_workgroup_id_z 1
		.amdhsa_system_sgpr_workgroup_info 0
		.amdhsa_system_vgpr_workitem_id 1
		.amdhsa_next_free_vgpr 6
		.amdhsa_next_free_sgpr 9
		.amdhsa_reserve_vcc 1
		.amdhsa_reserve_flat_scratch 0
		.amdhsa_float_round_mode_32 0
		.amdhsa_float_round_mode_16_64 0
		.amdhsa_float_denorm_mode_32 3
		.amdhsa_float_denorm_mode_16_64 3
		.amdhsa_dx10_clamp 1
		.amdhsa_ieee_mode 1
		.amdhsa_fp16_overflow 0
		.amdhsa_exception_fp_ieee_invalid_op 0
		.amdhsa_exception_fp_denorm_src 0
		.amdhsa_exception_fp_ieee_div_zero 0
		.amdhsa_exception_fp_ieee_overflow 0
		.amdhsa_exception_fp_ieee_underflow 0
		.amdhsa_exception_fp_ieee_inexact 0
		.amdhsa_exception_int_div_zero 0
	.end_amdhsa_kernel
	.section	.text._ZN9rocsolver6v33100L8set_zeroI19rocblas_complex_numIdEPS3_EEviiT0_iil13rocblas_fill_,"axG",@progbits,_ZN9rocsolver6v33100L8set_zeroI19rocblas_complex_numIdEPS3_EEviiT0_iil13rocblas_fill_,comdat
.Lfunc_end70:
	.size	_ZN9rocsolver6v33100L8set_zeroI19rocblas_complex_numIdEPS3_EEviiT0_iil13rocblas_fill_, .Lfunc_end70-_ZN9rocsolver6v33100L8set_zeroI19rocblas_complex_numIdEPS3_EEviiT0_iil13rocblas_fill_
                                        ; -- End function
	.set _ZN9rocsolver6v33100L8set_zeroI19rocblas_complex_numIdEPS3_EEviiT0_iil13rocblas_fill_.num_vgpr, 6
	.set _ZN9rocsolver6v33100L8set_zeroI19rocblas_complex_numIdEPS3_EEviiT0_iil13rocblas_fill_.num_agpr, 0
	.set _ZN9rocsolver6v33100L8set_zeroI19rocblas_complex_numIdEPS3_EEviiT0_iil13rocblas_fill_.numbered_sgpr, 9
	.set _ZN9rocsolver6v33100L8set_zeroI19rocblas_complex_numIdEPS3_EEviiT0_iil13rocblas_fill_.num_named_barrier, 0
	.set _ZN9rocsolver6v33100L8set_zeroI19rocblas_complex_numIdEPS3_EEviiT0_iil13rocblas_fill_.private_seg_size, 0
	.set _ZN9rocsolver6v33100L8set_zeroI19rocblas_complex_numIdEPS3_EEviiT0_iil13rocblas_fill_.uses_vcc, 1
	.set _ZN9rocsolver6v33100L8set_zeroI19rocblas_complex_numIdEPS3_EEviiT0_iil13rocblas_fill_.uses_flat_scratch, 0
	.set _ZN9rocsolver6v33100L8set_zeroI19rocblas_complex_numIdEPS3_EEviiT0_iil13rocblas_fill_.has_dyn_sized_stack, 0
	.set _ZN9rocsolver6v33100L8set_zeroI19rocblas_complex_numIdEPS3_EEviiT0_iil13rocblas_fill_.has_recursion, 0
	.set _ZN9rocsolver6v33100L8set_zeroI19rocblas_complex_numIdEPS3_EEviiT0_iil13rocblas_fill_.has_indirect_call, 0
	.section	.AMDGPU.csdata,"",@progbits
; Kernel info:
; codeLenInByte = 308
; TotalNumSgprs: 13
; NumVgprs: 6
; ScratchSize: 0
; MemoryBound: 0
; FloatMode: 240
; IeeeMode: 1
; LDSByteSize: 0 bytes/workgroup (compile time only)
; SGPRBlocks: 1
; VGPRBlocks: 1
; NumSGPRsForWavesPerEU: 13
; NumVGPRsForWavesPerEU: 6
; Occupancy: 10
; WaveLimiterHint : 0
; COMPUTE_PGM_RSRC2:SCRATCH_EN: 0
; COMPUTE_PGM_RSRC2:USER_SGPR: 6
; COMPUTE_PGM_RSRC2:TRAP_HANDLER: 0
; COMPUTE_PGM_RSRC2:TGID_X_EN: 1
; COMPUTE_PGM_RSRC2:TGID_Y_EN: 1
; COMPUTE_PGM_RSRC2:TGID_Z_EN: 1
; COMPUTE_PGM_RSRC2:TIDIG_COMP_CNT: 1
	.section	.text._ZN9rocsolver6v33100L8copy_matI19rocblas_complex_numIdEdLb1EPS3_TnNSt9enable_ifIX18rocblas_is_complexIT_EEiE4typeELi0EEEvNS0_17copymat_directionEiiT2_iilPT0_13rocblas_fill_17rocblas_diagonal_,"axG",@progbits,_ZN9rocsolver6v33100L8copy_matI19rocblas_complex_numIdEdLb1EPS3_TnNSt9enable_ifIX18rocblas_is_complexIT_EEiE4typeELi0EEEvNS0_17copymat_directionEiiT2_iilPT0_13rocblas_fill_17rocblas_diagonal_,comdat
	.globl	_ZN9rocsolver6v33100L8copy_matI19rocblas_complex_numIdEdLb1EPS3_TnNSt9enable_ifIX18rocblas_is_complexIT_EEiE4typeELi0EEEvNS0_17copymat_directionEiiT2_iilPT0_13rocblas_fill_17rocblas_diagonal_ ; -- Begin function _ZN9rocsolver6v33100L8copy_matI19rocblas_complex_numIdEdLb1EPS3_TnNSt9enable_ifIX18rocblas_is_complexIT_EEiE4typeELi0EEEvNS0_17copymat_directionEiiT2_iilPT0_13rocblas_fill_17rocblas_diagonal_
	.p2align	8
	.type	_ZN9rocsolver6v33100L8copy_matI19rocblas_complex_numIdEdLb1EPS3_TnNSt9enable_ifIX18rocblas_is_complexIT_EEiE4typeELi0EEEvNS0_17copymat_directionEiiT2_iilPT0_13rocblas_fill_17rocblas_diagonal_,@function
_ZN9rocsolver6v33100L8copy_matI19rocblas_complex_numIdEdLb1EPS3_TnNSt9enable_ifIX18rocblas_is_complexIT_EEiE4typeELi0EEEvNS0_17copymat_directionEiiT2_iilPT0_13rocblas_fill_17rocblas_diagonal_: ; @_ZN9rocsolver6v33100L8copy_matI19rocblas_complex_numIdEdLb1EPS3_TnNSt9enable_ifIX18rocblas_is_complexIT_EEiE4typeELi0EEEvNS0_17copymat_directionEiiT2_iilPT0_13rocblas_fill_17rocblas_diagonal_
; %bb.0:
	s_load_dwordx4 s[20:23], s[4:5], 0x0
	s_load_dword s0, s[4:5], 0x44
	s_waitcnt lgkmcnt(0)
	s_lshr_b32 s1, s0, 16
	s_and_b32 s0, s0, 0xffff
	s_mul_i32 s7, s7, s1
	s_mul_i32 s6, s6, s0
	v_add_u32_e32 v1, s7, v1
	v_add_u32_e32 v0, s6, v0
	v_cmp_gt_u32_e32 vcc, s21, v0
	v_cmp_gt_u32_e64 s[0:1], s22, v1
	s_and_b64 s[0:1], s[0:1], vcc
	s_and_saveexec_b64 s[2:3], s[0:1]
	s_cbranch_execz .LBB71_16
; %bb.1:
	s_load_dwordx2 s[2:3], s[4:5], 0x30
	s_mov_b32 s9, s21
	s_waitcnt lgkmcnt(0)
	s_cmpk_lt_i32 s2, 0x7a
	s_cbranch_scc1 .LBB71_4
; %bb.2:
	s_cmpk_gt_i32 s2, 0x7a
	s_cbranch_scc0 .LBB71_5
; %bb.3:
	s_cmpk_lg_i32 s2, 0x7b
	s_mov_b64 s[6:7], -1
	s_cselect_b64 s[10:11], -1, 0
	s_cbranch_execz .LBB71_6
	s_branch .LBB71_7
.LBB71_4:
	s_mov_b64 s[10:11], 0
	s_mov_b64 s[6:7], 0
	s_cbranch_execnz .LBB71_8
	s_branch .LBB71_10
.LBB71_5:
	s_mov_b64 s[6:7], 0
	s_mov_b64 s[10:11], 0
.LBB71_6:
	v_cmp_gt_u32_e32 vcc, v0, v1
	v_cmp_le_u32_e64 s[0:1], v0, v1
	s_andn2_b64 s[6:7], s[6:7], exec
	s_and_b64 s[12:13], vcc, exec
	s_andn2_b64 s[10:11], s[10:11], exec
	s_and_b64 s[0:1], s[0:1], exec
	s_or_b64 s[6:7], s[6:7], s[12:13]
	s_or_b64 s[10:11], s[10:11], s[0:1]
.LBB71_7:
	s_branch .LBB71_10
.LBB71_8:
	s_cmpk_eq_i32 s2, 0x79
	s_mov_b64 s[10:11], -1
	s_cbranch_scc0 .LBB71_10
; %bb.9:
	v_cmp_gt_u32_e32 vcc, v1, v0
	v_cmp_le_u32_e64 s[0:1], v1, v0
	s_andn2_b64 s[6:7], s[6:7], exec
	s_and_b64 s[10:11], vcc, exec
	s_or_b64 s[6:7], s[6:7], s[10:11]
	s_orn2_b64 s[10:11], s[0:1], exec
.LBB71_10:
	s_and_saveexec_b64 s[0:1], s[10:11]
; %bb.11:
	s_cmpk_eq_i32 s3, 0x83
	s_cselect_b64 s[2:3], -1, 0
	v_cmp_eq_u32_e32 vcc, v0, v1
	s_and_b64 s[2:3], s[2:3], vcc
	s_andn2_b64 s[6:7], s[6:7], exec
	s_and_b64 s[2:3], s[2:3], exec
	s_or_b64 s[6:7], s[6:7], s[2:3]
; %bb.12:
	s_or_b64 exec, exec, s[0:1]
	s_and_b64 exec, exec, s[6:7]
	s_cbranch_execz .LBB71_16
; %bb.13:
	s_load_dwordx8 s[12:19], s[4:5], 0x10
	s_ashr_i32 s4, s21, 31
	s_ashr_i32 s5, s22, 31
	s_mul_i32 s4, s4, s8
	s_waitcnt lgkmcnt(0)
	s_mul_i32 s2, s17, s8
	s_mul_hi_u32 s3, s16, s8
	s_add_i32 s3, s3, s2
	s_mul_i32 s2, s16, s8
	s_ashr_i32 s1, s14, 31
	s_lshl_b64 s[2:3], s[2:3], 4
	s_mov_b32 s0, s14
	s_add_u32 s2, s12, s2
	s_addc_u32 s3, s13, s3
	s_lshl_b64 s[0:1], s[0:1], 4
	s_add_u32 s2, s2, s0
	s_mul_hi_u32 s0, s21, s8
	s_addc_u32 s3, s3, s1
	s_add_i32 s0, s0, s4
	s_mul_i32 s4, s21, s8
	s_mul_i32 s1, s4, s5
	s_mul_hi_u32 s5, s4, s22
	s_add_i32 s1, s5, s1
	s_mul_i32 s0, s0, s22
	s_add_i32 s1, s1, s0
	s_mul_i32 s0, s4, s22
	s_lshl_b64 s[0:1], s[0:1], 3
	s_add_u32 s4, s18, s0
	s_addc_u32 s5, s19, s1
	s_cmp_lg_u32 s20, 0
	s_cbranch_scc0 .LBB71_17
; %bb.14:
	v_mad_u64_u32 v[2:3], s[0:1], v1, s9, v[0:1]
	v_mov_b32_e32 v3, 0
	v_mov_b32_e32 v6, s5
	v_lshlrev_b64 v[4:5], 3, v[2:3]
	v_mov_b32_e32 v8, s3
	v_add_co_u32_e32 v4, vcc, s4, v4
	v_addc_co_u32_e32 v5, vcc, v6, v5, vcc
	global_load_dwordx2 v[4:5], v[4:5], off
	v_mad_u64_u32 v[6:7], s[0:1], v1, s15, v[0:1]
	v_mov_b32_e32 v7, v3
	v_lshlrev_b64 v[2:3], 4, v[6:7]
	v_add_co_u32_e32 v2, vcc, s2, v2
	v_addc_co_u32_e32 v3, vcc, v8, v3, vcc
	s_waitcnt vmcnt(0)
	global_store_dwordx2 v[2:3], v[4:5], off
	s_cbranch_execnz .LBB71_16
.LBB71_15:
	v_mad_u64_u32 v[2:3], s[0:1], v1, s15, v[0:1]
	v_mov_b32_e32 v3, 0
	v_mov_b32_e32 v6, s3
	v_lshlrev_b64 v[4:5], 4, v[2:3]
	v_mad_u64_u32 v[0:1], s[0:1], v1, s9, v[0:1]
	v_add_co_u32_e32 v4, vcc, s2, v4
	v_addc_co_u32_e32 v5, vcc, v6, v5, vcc
	global_load_dwordx2 v[4:5], v[4:5], off
	v_mov_b32_e32 v1, v3
	v_lshlrev_b64 v[0:1], 3, v[0:1]
	v_mov_b32_e32 v2, s5
	v_add_co_u32_e32 v0, vcc, s4, v0
	v_addc_co_u32_e32 v1, vcc, v2, v1, vcc
	s_waitcnt vmcnt(0)
	global_store_dwordx2 v[0:1], v[4:5], off
.LBB71_16:
	s_endpgm
.LBB71_17:
	s_branch .LBB71_15
	.section	.rodata,"a",@progbits
	.p2align	6, 0x0
	.amdhsa_kernel _ZN9rocsolver6v33100L8copy_matI19rocblas_complex_numIdEdLb1EPS3_TnNSt9enable_ifIX18rocblas_is_complexIT_EEiE4typeELi0EEEvNS0_17copymat_directionEiiT2_iilPT0_13rocblas_fill_17rocblas_diagonal_
		.amdhsa_group_segment_fixed_size 0
		.amdhsa_private_segment_fixed_size 0
		.amdhsa_kernarg_size 312
		.amdhsa_user_sgpr_count 6
		.amdhsa_user_sgpr_private_segment_buffer 1
		.amdhsa_user_sgpr_dispatch_ptr 0
		.amdhsa_user_sgpr_queue_ptr 0
		.amdhsa_user_sgpr_kernarg_segment_ptr 1
		.amdhsa_user_sgpr_dispatch_id 0
		.amdhsa_user_sgpr_flat_scratch_init 0
		.amdhsa_user_sgpr_private_segment_size 0
		.amdhsa_uses_dynamic_stack 0
		.amdhsa_system_sgpr_private_segment_wavefront_offset 0
		.amdhsa_system_sgpr_workgroup_id_x 1
		.amdhsa_system_sgpr_workgroup_id_y 1
		.amdhsa_system_sgpr_workgroup_id_z 1
		.amdhsa_system_sgpr_workgroup_info 0
		.amdhsa_system_vgpr_workitem_id 1
		.amdhsa_next_free_vgpr 9
		.amdhsa_next_free_sgpr 24
		.amdhsa_reserve_vcc 1
		.amdhsa_reserve_flat_scratch 0
		.amdhsa_float_round_mode_32 0
		.amdhsa_float_round_mode_16_64 0
		.amdhsa_float_denorm_mode_32 3
		.amdhsa_float_denorm_mode_16_64 3
		.amdhsa_dx10_clamp 1
		.amdhsa_ieee_mode 1
		.amdhsa_fp16_overflow 0
		.amdhsa_exception_fp_ieee_invalid_op 0
		.amdhsa_exception_fp_denorm_src 0
		.amdhsa_exception_fp_ieee_div_zero 0
		.amdhsa_exception_fp_ieee_overflow 0
		.amdhsa_exception_fp_ieee_underflow 0
		.amdhsa_exception_fp_ieee_inexact 0
		.amdhsa_exception_int_div_zero 0
	.end_amdhsa_kernel
	.section	.text._ZN9rocsolver6v33100L8copy_matI19rocblas_complex_numIdEdLb1EPS3_TnNSt9enable_ifIX18rocblas_is_complexIT_EEiE4typeELi0EEEvNS0_17copymat_directionEiiT2_iilPT0_13rocblas_fill_17rocblas_diagonal_,"axG",@progbits,_ZN9rocsolver6v33100L8copy_matI19rocblas_complex_numIdEdLb1EPS3_TnNSt9enable_ifIX18rocblas_is_complexIT_EEiE4typeELi0EEEvNS0_17copymat_directionEiiT2_iilPT0_13rocblas_fill_17rocblas_diagonal_,comdat
.Lfunc_end71:
	.size	_ZN9rocsolver6v33100L8copy_matI19rocblas_complex_numIdEdLb1EPS3_TnNSt9enable_ifIX18rocblas_is_complexIT_EEiE4typeELi0EEEvNS0_17copymat_directionEiiT2_iilPT0_13rocblas_fill_17rocblas_diagonal_, .Lfunc_end71-_ZN9rocsolver6v33100L8copy_matI19rocblas_complex_numIdEdLb1EPS3_TnNSt9enable_ifIX18rocblas_is_complexIT_EEiE4typeELi0EEEvNS0_17copymat_directionEiiT2_iilPT0_13rocblas_fill_17rocblas_diagonal_
                                        ; -- End function
	.set _ZN9rocsolver6v33100L8copy_matI19rocblas_complex_numIdEdLb1EPS3_TnNSt9enable_ifIX18rocblas_is_complexIT_EEiE4typeELi0EEEvNS0_17copymat_directionEiiT2_iilPT0_13rocblas_fill_17rocblas_diagonal_.num_vgpr, 9
	.set _ZN9rocsolver6v33100L8copy_matI19rocblas_complex_numIdEdLb1EPS3_TnNSt9enable_ifIX18rocblas_is_complexIT_EEiE4typeELi0EEEvNS0_17copymat_directionEiiT2_iilPT0_13rocblas_fill_17rocblas_diagonal_.num_agpr, 0
	.set _ZN9rocsolver6v33100L8copy_matI19rocblas_complex_numIdEdLb1EPS3_TnNSt9enable_ifIX18rocblas_is_complexIT_EEiE4typeELi0EEEvNS0_17copymat_directionEiiT2_iilPT0_13rocblas_fill_17rocblas_diagonal_.numbered_sgpr, 24
	.set _ZN9rocsolver6v33100L8copy_matI19rocblas_complex_numIdEdLb1EPS3_TnNSt9enable_ifIX18rocblas_is_complexIT_EEiE4typeELi0EEEvNS0_17copymat_directionEiiT2_iilPT0_13rocblas_fill_17rocblas_diagonal_.num_named_barrier, 0
	.set _ZN9rocsolver6v33100L8copy_matI19rocblas_complex_numIdEdLb1EPS3_TnNSt9enable_ifIX18rocblas_is_complexIT_EEiE4typeELi0EEEvNS0_17copymat_directionEiiT2_iilPT0_13rocblas_fill_17rocblas_diagonal_.private_seg_size, 0
	.set _ZN9rocsolver6v33100L8copy_matI19rocblas_complex_numIdEdLb1EPS3_TnNSt9enable_ifIX18rocblas_is_complexIT_EEiE4typeELi0EEEvNS0_17copymat_directionEiiT2_iilPT0_13rocblas_fill_17rocblas_diagonal_.uses_vcc, 1
	.set _ZN9rocsolver6v33100L8copy_matI19rocblas_complex_numIdEdLb1EPS3_TnNSt9enable_ifIX18rocblas_is_complexIT_EEiE4typeELi0EEEvNS0_17copymat_directionEiiT2_iilPT0_13rocblas_fill_17rocblas_diagonal_.uses_flat_scratch, 0
	.set _ZN9rocsolver6v33100L8copy_matI19rocblas_complex_numIdEdLb1EPS3_TnNSt9enable_ifIX18rocblas_is_complexIT_EEiE4typeELi0EEEvNS0_17copymat_directionEiiT2_iilPT0_13rocblas_fill_17rocblas_diagonal_.has_dyn_sized_stack, 0
	.set _ZN9rocsolver6v33100L8copy_matI19rocblas_complex_numIdEdLb1EPS3_TnNSt9enable_ifIX18rocblas_is_complexIT_EEiE4typeELi0EEEvNS0_17copymat_directionEiiT2_iilPT0_13rocblas_fill_17rocblas_diagonal_.has_recursion, 0
	.set _ZN9rocsolver6v33100L8copy_matI19rocblas_complex_numIdEdLb1EPS3_TnNSt9enable_ifIX18rocblas_is_complexIT_EEiE4typeELi0EEEvNS0_17copymat_directionEiiT2_iilPT0_13rocblas_fill_17rocblas_diagonal_.has_indirect_call, 0
	.section	.AMDGPU.csdata,"",@progbits
; Kernel info:
; codeLenInByte = 580
; TotalNumSgprs: 28
; NumVgprs: 9
; ScratchSize: 0
; MemoryBound: 0
; FloatMode: 240
; IeeeMode: 1
; LDSByteSize: 0 bytes/workgroup (compile time only)
; SGPRBlocks: 3
; VGPRBlocks: 2
; NumSGPRsForWavesPerEU: 28
; NumVGPRsForWavesPerEU: 9
; Occupancy: 10
; WaveLimiterHint : 0
; COMPUTE_PGM_RSRC2:SCRATCH_EN: 0
; COMPUTE_PGM_RSRC2:USER_SGPR: 6
; COMPUTE_PGM_RSRC2:TRAP_HANDLER: 0
; COMPUTE_PGM_RSRC2:TGID_X_EN: 1
; COMPUTE_PGM_RSRC2:TGID_Y_EN: 1
; COMPUTE_PGM_RSRC2:TGID_Z_EN: 1
; COMPUTE_PGM_RSRC2:TIDIG_COMP_CNT: 1
	.section	.text._ZN9rocsolver6v33100L11stedc_copyCI19rocblas_complex_numIdEPS3_S4_EEviT0_iilT1_iil,"axG",@progbits,_ZN9rocsolver6v33100L11stedc_copyCI19rocblas_complex_numIdEPS3_S4_EEviT0_iilT1_iil,comdat
	.globl	_ZN9rocsolver6v33100L11stedc_copyCI19rocblas_complex_numIdEPS3_S4_EEviT0_iilT1_iil ; -- Begin function _ZN9rocsolver6v33100L11stedc_copyCI19rocblas_complex_numIdEPS3_S4_EEviT0_iilT1_iil
	.p2align	8
	.type	_ZN9rocsolver6v33100L11stedc_copyCI19rocblas_complex_numIdEPS3_S4_EEviT0_iilT1_iil,@function
_ZN9rocsolver6v33100L11stedc_copyCI19rocblas_complex_numIdEPS3_S4_EEviT0_iilT1_iil: ; @_ZN9rocsolver6v33100L11stedc_copyCI19rocblas_complex_numIdEPS3_S4_EEviT0_iilT1_iil
; %bb.0:
	s_add_u32 s0, s0, s8
	s_load_dword s8, s[4:5], 0x44
	s_load_dword s41, s[4:5], 0x0
	s_addc_u32 s1, s1, 0
	s_waitcnt lgkmcnt(0)
	s_and_b32 s33, s8, 0xffff
	s_lshl_b32 s40, s33, 4
	v_cvt_f32_u32_e32 v1, s40
	s_sub_i32 s10, 0, s40
	s_add_i32 s8, s41, -1
	s_ashr_i32 s9, s8, 31
	v_rcp_iflag_f32_e32 v1, v1
	s_abs_i32 s8, s8
	v_mul_f32_e32 v1, 0x4f7ffffe, v1
	v_cvt_u32_f32_e32 v1, v1
	v_readfirstlane_b32 s11, v1
	s_mul_i32 s10, s10, s11
	s_mul_hi_u32 s10, s11, s10
	s_add_i32 s11, s11, s10
	s_mul_hi_u32 s10, s8, s11
	s_mul_i32 s11, s10, s40
	s_sub_i32 s8, s8, s11
	s_add_i32 s12, s10, 1
	s_sub_i32 s11, s8, s40
	s_cmp_ge_u32 s8, s40
	s_cselect_b32 s10, s12, s10
	s_cselect_b32 s8, s11, s8
	s_add_i32 s11, s10, 1
	s_cmp_ge_u32 s8, s40
	s_cselect_b32 s8, s11, s10
	s_xor_b32 s8, s8, s9
	s_sub_i32 s20, s8, s9
	s_cmp_lt_i32 s20, 0
	s_cbranch_scc1 .LBB72_67
; %bb.1:
	s_load_dwordx8 s[8:15], s[4:5], 0x8
	s_load_dwordx4 s[16:19], s[4:5], 0x28
	s_ashr_i32 s21, s7, 31
	s_mov_b32 s46, 16
	s_mov_b32 s47, 32
	s_waitcnt lgkmcnt(0)
	s_ashr_i32 s5, s10, 31
	s_mov_b32 s4, s10
	s_mul_hi_u32 s10, s12, s7
	s_mul_i32 s22, s12, s21
	s_add_i32 s10, s10, s22
	s_mul_i32 s13, s13, s7
	s_add_i32 s13, s10, s13
	s_mul_i32 s12, s12, s7
	s_lshl_b64 s[12:13], s[12:13], 4
	s_add_u32 s8, s8, s12
	s_addc_u32 s9, s9, s13
	s_lshl_b64 s[4:5], s[4:5], 4
	s_add_u32 s10, s8, s4
	s_addc_u32 s12, s9, s5
	s_mul_hi_u32 s8, s18, s7
	s_mul_i32 s9, s18, s21
	s_add_i32 s8, s8, s9
	s_mul_i32 s9, s19, s7
	s_add_i32 s9, s8, s9
	s_mul_i32 s8, s18, s7
	s_ashr_i32 s5, s16, 31
	s_lshl_b64 s[8:9], s[8:9], 4
	s_mov_b32 s4, s16
	s_add_u32 s7, s14, s8
	s_addc_u32 s8, s15, s9
	s_lshl_b64 s[4:5], s[4:5], 4
	s_add_u32 s7, s7, s4
	s_mul_i32 s4, s11, s6
	s_addc_u32 s8, s8, s5
	s_ashr_i32 s5, s4, 31
	s_lshl_b64 s[4:5], s[4:5], 4
	s_add_u32 s42, s10, s4
	s_mul_i32 s4, s17, s6
	s_addc_u32 s43, s12, s5
	s_ashr_i32 s5, s4, 31
	s_lshl_b64 s[4:5], s[4:5], 4
	s_add_u32 s44, s7, s4
	s_addc_u32 s45, s8, s5
	s_mov_b32 s48, 48
	s_mov_b32 s49, 64
	s_movk_i32 s50, 0x50
	s_movk_i32 s51, 0x60
	;; [unrolled: 1-line block ×11, first 2 shown]
	s_add_i32 s61, s20, 1
	s_lshl_b32 s62, s33, 1
	s_mul_i32 s63, s33, 3
	s_lshl_b32 s64, s33, 2
	s_mul_i32 s65, s33, 5
	s_mul_i32 s66, s33, 6
	;; [unrolled: 1-line block ×3, first 2 shown]
	s_lshl_b32 s68, s33, 3
	s_mul_i32 s69, s33, 9
	s_mul_i32 s70, s33, 10
	s_mul_i32 s71, s33, 11
	s_mul_i32 s72, s33, 12
	s_mul_i32 s73, s33, 13
	s_mul_i32 s74, s33, 14
	s_mul_i32 s75, s33, 15
	s_branch .LBB72_3
.LBB72_2:                               ;   in Loop: Header=BB72_3 Depth=1
	s_or_b64 exec, exec, s[4:5]
	s_add_i32 s61, s61, -1
	s_cmp_eq_u32 s61, 0
	v_add_u32_e32 v0, s40, v0
	s_cbranch_scc1 .LBB72_67
.LBB72_3:                               ; =>This Inner Loop Header: Depth=1
	v_cmp_gt_i32_e64 s[34:35], s41, v0
	v_ashrrev_i32_e32 v1, 31, v0
	s_and_saveexec_b64 s[4:5], s[34:35]
	s_cbranch_execz .LBB72_5
; %bb.4:                                ;   in Loop: Header=BB72_3 Depth=1
	v_lshlrev_b64 v[2:3], 4, v[0:1]
	v_mov_b32_e32 v4, s43
	v_add_co_u32_e32 v2, vcc, s42, v2
	v_addc_co_u32_e32 v3, vcc, v4, v3, vcc
	global_load_dwordx4 v[2:5], v[2:3], off
	s_waitcnt vmcnt(0)
	buffer_store_dword v5, off, s[0:3], 0 offset:12
	buffer_store_dword v4, off, s[0:3], 0 offset:8
	;; [unrolled: 1-line block ×3, first 2 shown]
	buffer_store_dword v2, off, s[0:3], 0
.LBB72_5:                               ;   in Loop: Header=BB72_3 Depth=1
	s_or_b64 exec, exec, s[4:5]
	v_add_u32_e32 v30, s33, v0
	v_cmp_gt_i32_e64 s[30:31], s41, v30
	v_ashrrev_i32_e32 v31, 31, v30
	s_and_saveexec_b64 s[4:5], s[30:31]
	s_cbranch_execz .LBB72_7
; %bb.6:                                ;   in Loop: Header=BB72_3 Depth=1
	v_lshlrev_b64 v[2:3], 4, v[30:31]
	v_mov_b32_e32 v4, s43
	v_add_co_u32_e32 v2, vcc, s42, v2
	v_addc_co_u32_e32 v3, vcc, v4, v3, vcc
	global_load_dwordx4 v[2:5], v[2:3], off
	v_mov_b32_e32 v6, s46
	s_waitcnt vmcnt(0)
	buffer_store_dword v5, v6, s[0:3], 0 offen offset:12
	buffer_store_dword v4, v6, s[0:3], 0 offen offset:8
	;; [unrolled: 1-line block ×3, first 2 shown]
	buffer_store_dword v2, v6, s[0:3], 0 offen
.LBB72_7:                               ;   in Loop: Header=BB72_3 Depth=1
	s_or_b64 exec, exec, s[4:5]
	v_add_u32_e32 v28, s62, v0
	v_add_u32_e32 v2, s33, v30
	v_cmp_gt_i32_e64 s[28:29], s41, v2
	v_ashrrev_i32_e32 v29, 31, v28
	s_and_saveexec_b64 s[4:5], s[28:29]
	s_cbranch_execz .LBB72_9
; %bb.8:                                ;   in Loop: Header=BB72_3 Depth=1
	v_lshlrev_b64 v[3:4], 4, v[28:29]
	v_mov_b32_e32 v5, s43
	v_add_co_u32_e32 v3, vcc, s42, v3
	v_addc_co_u32_e32 v4, vcc, v5, v4, vcc
	global_load_dwordx4 v[3:6], v[3:4], off
	v_mov_b32_e32 v7, s47
	s_waitcnt vmcnt(0)
	buffer_store_dword v6, v7, s[0:3], 0 offen offset:12
	buffer_store_dword v5, v7, s[0:3], 0 offen offset:8
	;; [unrolled: 1-line block ×3, first 2 shown]
	buffer_store_dword v3, v7, s[0:3], 0 offen
.LBB72_9:                               ;   in Loop: Header=BB72_3 Depth=1
	s_or_b64 exec, exec, s[4:5]
	v_add_u32_e32 v26, s63, v0
	v_add_u32_e32 v2, s33, v2
	v_cmp_gt_i32_e64 s[26:27], s41, v2
	v_ashrrev_i32_e32 v27, 31, v26
	s_and_saveexec_b64 s[4:5], s[26:27]
	s_cbranch_execz .LBB72_11
; %bb.10:                               ;   in Loop: Header=BB72_3 Depth=1
	v_lshlrev_b64 v[3:4], 4, v[26:27]
	v_mov_b32_e32 v5, s43
	v_add_co_u32_e32 v3, vcc, s42, v3
	v_addc_co_u32_e32 v4, vcc, v5, v4, vcc
	global_load_dwordx4 v[3:6], v[3:4], off
	v_mov_b32_e32 v7, s48
	s_waitcnt vmcnt(0)
	buffer_store_dword v6, v7, s[0:3], 0 offen offset:12
	buffer_store_dword v5, v7, s[0:3], 0 offen offset:8
	buffer_store_dword v4, v7, s[0:3], 0 offen offset:4
	buffer_store_dword v3, v7, s[0:3], 0 offen
.LBB72_11:                              ;   in Loop: Header=BB72_3 Depth=1
	s_or_b64 exec, exec, s[4:5]
	v_add_u32_e32 v24, s64, v0
	v_add_u32_e32 v2, s33, v2
	v_cmp_gt_i32_e64 s[24:25], s41, v2
	v_ashrrev_i32_e32 v25, 31, v24
	s_and_saveexec_b64 s[4:5], s[24:25]
	s_cbranch_execz .LBB72_13
; %bb.12:                               ;   in Loop: Header=BB72_3 Depth=1
	v_lshlrev_b64 v[3:4], 4, v[24:25]
	v_mov_b32_e32 v5, s43
	v_add_co_u32_e32 v3, vcc, s42, v3
	v_addc_co_u32_e32 v4, vcc, v5, v4, vcc
	global_load_dwordx4 v[3:6], v[3:4], off
	v_mov_b32_e32 v7, s49
	s_waitcnt vmcnt(0)
	buffer_store_dword v6, v7, s[0:3], 0 offen offset:12
	buffer_store_dword v5, v7, s[0:3], 0 offen offset:8
	buffer_store_dword v4, v7, s[0:3], 0 offen offset:4
	buffer_store_dword v3, v7, s[0:3], 0 offen
.LBB72_13:                              ;   in Loop: Header=BB72_3 Depth=1
	;; [unrolled: 20-line block ×12, first 2 shown]
	s_or_b64 exec, exec, s[36:37]
	v_add_u32_e32 v2, s75, v0
	v_add_u32_e32 v3, s33, v3
	v_cmp_gt_i32_e32 vcc, s41, v3
	v_ashrrev_i32_e32 v3, 31, v2
	s_and_saveexec_b64 s[38:39], vcc
	s_cbranch_execnz .LBB72_50
; %bb.34:                               ;   in Loop: Header=BB72_3 Depth=1
	s_or_b64 exec, exec, s[38:39]
	s_and_saveexec_b64 s[36:37], s[34:35]
	s_cbranch_execnz .LBB72_51
.LBB72_35:                              ;   in Loop: Header=BB72_3 Depth=1
	s_or_b64 exec, exec, s[36:37]
	s_and_saveexec_b64 s[34:35], s[30:31]
	s_cbranch_execnz .LBB72_52
.LBB72_36:                              ;   in Loop: Header=BB72_3 Depth=1
	s_or_b64 exec, exec, s[34:35]
	s_and_saveexec_b64 s[30:31], s[28:29]
	s_cbranch_execnz .LBB72_53
.LBB72_37:                              ;   in Loop: Header=BB72_3 Depth=1
	s_or_b64 exec, exec, s[30:31]
	s_and_saveexec_b64 s[28:29], s[26:27]
	s_cbranch_execnz .LBB72_54
.LBB72_38:                              ;   in Loop: Header=BB72_3 Depth=1
	s_or_b64 exec, exec, s[28:29]
	s_and_saveexec_b64 s[26:27], s[24:25]
	s_cbranch_execnz .LBB72_55
.LBB72_39:                              ;   in Loop: Header=BB72_3 Depth=1
	s_or_b64 exec, exec, s[26:27]
	s_and_saveexec_b64 s[24:25], s[22:23]
	s_cbranch_execnz .LBB72_56
.LBB72_40:                              ;   in Loop: Header=BB72_3 Depth=1
	s_or_b64 exec, exec, s[24:25]
	s_and_saveexec_b64 s[22:23], s[20:21]
	s_cbranch_execnz .LBB72_57
.LBB72_41:                              ;   in Loop: Header=BB72_3 Depth=1
	s_or_b64 exec, exec, s[22:23]
	s_and_saveexec_b64 s[20:21], s[18:19]
	s_cbranch_execnz .LBB72_58
.LBB72_42:                              ;   in Loop: Header=BB72_3 Depth=1
	s_or_b64 exec, exec, s[20:21]
	s_and_saveexec_b64 s[18:19], s[16:17]
	s_cbranch_execnz .LBB72_59
.LBB72_43:                              ;   in Loop: Header=BB72_3 Depth=1
	s_or_b64 exec, exec, s[18:19]
	s_and_saveexec_b64 s[16:17], s[14:15]
	s_cbranch_execnz .LBB72_60
.LBB72_44:                              ;   in Loop: Header=BB72_3 Depth=1
	s_or_b64 exec, exec, s[16:17]
	s_and_saveexec_b64 s[14:15], s[12:13]
	s_cbranch_execnz .LBB72_61
.LBB72_45:                              ;   in Loop: Header=BB72_3 Depth=1
	s_or_b64 exec, exec, s[14:15]
	s_and_saveexec_b64 s[12:13], s[10:11]
	s_cbranch_execnz .LBB72_62
.LBB72_46:                              ;   in Loop: Header=BB72_3 Depth=1
	s_or_b64 exec, exec, s[12:13]
	s_and_saveexec_b64 s[10:11], s[8:9]
	s_cbranch_execnz .LBB72_63
.LBB72_47:                              ;   in Loop: Header=BB72_3 Depth=1
	s_or_b64 exec, exec, s[10:11]
	s_and_saveexec_b64 s[8:9], s[6:7]
	s_cbranch_execnz .LBB72_64
.LBB72_48:                              ;   in Loop: Header=BB72_3 Depth=1
	s_or_b64 exec, exec, s[8:9]
	s_and_saveexec_b64 s[6:7], s[4:5]
	s_cbranch_execnz .LBB72_65
.LBB72_49:                              ;   in Loop: Header=BB72_3 Depth=1
	s_or_b64 exec, exec, s[6:7]
	s_and_saveexec_b64 s[4:5], vcc
	s_cbranch_execz .LBB72_2
	s_branch .LBB72_66
.LBB72_50:                              ;   in Loop: Header=BB72_3 Depth=1
	v_lshlrev_b64 v[32:33], 4, v[2:3]
	v_mov_b32_e32 v34, s43
	v_add_co_u32_e64 v32, s[36:37], s42, v32
	v_addc_co_u32_e64 v33, s[36:37], v34, v33, s[36:37]
	global_load_dwordx4 v[32:35], v[32:33], off
	v_mov_b32_e32 v36, s60
	s_waitcnt vmcnt(0)
	buffer_store_dword v35, v36, s[0:3], 0 offen offset:12
	buffer_store_dword v34, v36, s[0:3], 0 offen offset:8
	buffer_store_dword v33, v36, s[0:3], 0 offen offset:4
	buffer_store_dword v32, v36, s[0:3], 0 offen
	s_or_b64 exec, exec, s[38:39]
	s_and_saveexec_b64 s[36:37], s[34:35]
	s_cbranch_execz .LBB72_35
.LBB72_51:                              ;   in Loop: Header=BB72_3 Depth=1
	buffer_load_dword v32, off, s[0:3], 0
	buffer_load_dword v33, off, s[0:3], 0 offset:4
	buffer_load_dword v34, off, s[0:3], 0 offset:8
	;; [unrolled: 1-line block ×3, first 2 shown]
	v_lshlrev_b64 v[36:37], 4, v[0:1]
	v_mov_b32_e32 v1, s45
	v_add_co_u32_e64 v36, s[34:35], s44, v36
	v_addc_co_u32_e64 v37, s[34:35], v1, v37, s[34:35]
	s_waitcnt vmcnt(0)
	global_store_dwordx4 v[36:37], v[32:35], off
	s_or_b64 exec, exec, s[36:37]
	s_and_saveexec_b64 s[34:35], s[30:31]
	s_cbranch_execz .LBB72_36
.LBB72_52:                              ;   in Loop: Header=BB72_3 Depth=1
	v_mov_b32_e32 v1, s46
	buffer_load_dword v32, v1, s[0:3], 0 offen
	buffer_load_dword v33, v1, s[0:3], 0 offen offset:4
	buffer_load_dword v34, v1, s[0:3], 0 offen offset:8
	;; [unrolled: 1-line block ×3, first 2 shown]
	v_lshlrev_b64 v[30:31], 4, v[30:31]
	v_mov_b32_e32 v1, s45
	v_add_co_u32_e64 v30, s[30:31], s44, v30
	v_addc_co_u32_e64 v31, s[30:31], v1, v31, s[30:31]
	s_waitcnt vmcnt(0)
	global_store_dwordx4 v[30:31], v[32:35], off
	s_or_b64 exec, exec, s[34:35]
	s_and_saveexec_b64 s[30:31], s[28:29]
	s_cbranch_execz .LBB72_37
.LBB72_53:                              ;   in Loop: Header=BB72_3 Depth=1
	v_mov_b32_e32 v1, s47
	buffer_load_dword v30, v1, s[0:3], 0 offen
	buffer_load_dword v31, v1, s[0:3], 0 offen offset:4
	buffer_load_dword v32, v1, s[0:3], 0 offen offset:8
	;; [unrolled: 1-line block ×3, first 2 shown]
	v_lshlrev_b64 v[28:29], 4, v[28:29]
	v_mov_b32_e32 v1, s45
	v_add_co_u32_e64 v28, s[28:29], s44, v28
	v_addc_co_u32_e64 v29, s[28:29], v1, v29, s[28:29]
	s_waitcnt vmcnt(0)
	global_store_dwordx4 v[28:29], v[30:33], off
	s_or_b64 exec, exec, s[30:31]
	s_and_saveexec_b64 s[28:29], s[26:27]
	s_cbranch_execz .LBB72_38
.LBB72_54:                              ;   in Loop: Header=BB72_3 Depth=1
	v_mov_b32_e32 v1, s48
	buffer_load_dword v28, v1, s[0:3], 0 offen
	buffer_load_dword v29, v1, s[0:3], 0 offen offset:4
	buffer_load_dword v30, v1, s[0:3], 0 offen offset:8
	;; [unrolled: 1-line block ×3, first 2 shown]
	v_lshlrev_b64 v[26:27], 4, v[26:27]
	v_mov_b32_e32 v1, s45
	v_add_co_u32_e64 v26, s[26:27], s44, v26
	v_addc_co_u32_e64 v27, s[26:27], v1, v27, s[26:27]
	s_waitcnt vmcnt(0)
	global_store_dwordx4 v[26:27], v[28:31], off
	s_or_b64 exec, exec, s[28:29]
	s_and_saveexec_b64 s[26:27], s[24:25]
	s_cbranch_execz .LBB72_39
.LBB72_55:                              ;   in Loop: Header=BB72_3 Depth=1
	v_mov_b32_e32 v1, s49
	buffer_load_dword v26, v1, s[0:3], 0 offen
	buffer_load_dword v27, v1, s[0:3], 0 offen offset:4
	buffer_load_dword v28, v1, s[0:3], 0 offen offset:8
	;; [unrolled: 1-line block ×3, first 2 shown]
	v_lshlrev_b64 v[24:25], 4, v[24:25]
	v_mov_b32_e32 v1, s45
	v_add_co_u32_e64 v24, s[24:25], s44, v24
	v_addc_co_u32_e64 v25, s[24:25], v1, v25, s[24:25]
	s_waitcnt vmcnt(0)
	global_store_dwordx4 v[24:25], v[26:29], off
	s_or_b64 exec, exec, s[26:27]
	s_and_saveexec_b64 s[24:25], s[22:23]
	s_cbranch_execz .LBB72_40
.LBB72_56:                              ;   in Loop: Header=BB72_3 Depth=1
	v_mov_b32_e32 v1, s50
	buffer_load_dword v24, v1, s[0:3], 0 offen
	buffer_load_dword v25, v1, s[0:3], 0 offen offset:4
	buffer_load_dword v26, v1, s[0:3], 0 offen offset:8
	;; [unrolled: 1-line block ×3, first 2 shown]
	v_lshlrev_b64 v[22:23], 4, v[22:23]
	v_mov_b32_e32 v1, s45
	v_add_co_u32_e64 v22, s[22:23], s44, v22
	v_addc_co_u32_e64 v23, s[22:23], v1, v23, s[22:23]
	s_waitcnt vmcnt(0)
	global_store_dwordx4 v[22:23], v[24:27], off
	s_or_b64 exec, exec, s[24:25]
	s_and_saveexec_b64 s[22:23], s[20:21]
	s_cbranch_execz .LBB72_41
.LBB72_57:                              ;   in Loop: Header=BB72_3 Depth=1
	v_mov_b32_e32 v1, s51
	buffer_load_dword v22, v1, s[0:3], 0 offen
	buffer_load_dword v23, v1, s[0:3], 0 offen offset:4
	buffer_load_dword v24, v1, s[0:3], 0 offen offset:8
	;; [unrolled: 1-line block ×3, first 2 shown]
	v_lshlrev_b64 v[20:21], 4, v[20:21]
	v_mov_b32_e32 v1, s45
	v_add_co_u32_e64 v20, s[20:21], s44, v20
	v_addc_co_u32_e64 v21, s[20:21], v1, v21, s[20:21]
	s_waitcnt vmcnt(0)
	global_store_dwordx4 v[20:21], v[22:25], off
	s_or_b64 exec, exec, s[22:23]
	s_and_saveexec_b64 s[20:21], s[18:19]
	s_cbranch_execz .LBB72_42
.LBB72_58:                              ;   in Loop: Header=BB72_3 Depth=1
	v_mov_b32_e32 v1, s52
	buffer_load_dword v20, v1, s[0:3], 0 offen
	buffer_load_dword v21, v1, s[0:3], 0 offen offset:4
	buffer_load_dword v22, v1, s[0:3], 0 offen offset:8
	;; [unrolled: 1-line block ×3, first 2 shown]
	v_lshlrev_b64 v[18:19], 4, v[18:19]
	v_mov_b32_e32 v1, s45
	v_add_co_u32_e64 v18, s[18:19], s44, v18
	v_addc_co_u32_e64 v19, s[18:19], v1, v19, s[18:19]
	s_waitcnt vmcnt(0)
	global_store_dwordx4 v[18:19], v[20:23], off
	s_or_b64 exec, exec, s[20:21]
	s_and_saveexec_b64 s[18:19], s[16:17]
	s_cbranch_execz .LBB72_43
.LBB72_59:                              ;   in Loop: Header=BB72_3 Depth=1
	v_mov_b32_e32 v1, s53
	buffer_load_dword v18, v1, s[0:3], 0 offen
	buffer_load_dword v19, v1, s[0:3], 0 offen offset:4
	buffer_load_dword v20, v1, s[0:3], 0 offen offset:8
	buffer_load_dword v21, v1, s[0:3], 0 offen offset:12
	v_lshlrev_b64 v[16:17], 4, v[16:17]
	v_mov_b32_e32 v1, s45
	v_add_co_u32_e64 v16, s[16:17], s44, v16
	v_addc_co_u32_e64 v17, s[16:17], v1, v17, s[16:17]
	s_waitcnt vmcnt(0)
	global_store_dwordx4 v[16:17], v[18:21], off
	s_or_b64 exec, exec, s[18:19]
	s_and_saveexec_b64 s[16:17], s[14:15]
	s_cbranch_execz .LBB72_44
.LBB72_60:                              ;   in Loop: Header=BB72_3 Depth=1
	v_mov_b32_e32 v1, s54
	buffer_load_dword v16, v1, s[0:3], 0 offen
	buffer_load_dword v17, v1, s[0:3], 0 offen offset:4
	buffer_load_dword v18, v1, s[0:3], 0 offen offset:8
	;; [unrolled: 1-line block ×3, first 2 shown]
	v_lshlrev_b64 v[14:15], 4, v[14:15]
	v_mov_b32_e32 v1, s45
	v_add_co_u32_e64 v14, s[14:15], s44, v14
	v_addc_co_u32_e64 v15, s[14:15], v1, v15, s[14:15]
	s_waitcnt vmcnt(0)
	global_store_dwordx4 v[14:15], v[16:19], off
	s_or_b64 exec, exec, s[16:17]
	s_and_saveexec_b64 s[14:15], s[12:13]
	s_cbranch_execz .LBB72_45
.LBB72_61:                              ;   in Loop: Header=BB72_3 Depth=1
	v_mov_b32_e32 v1, s55
	buffer_load_dword v14, v1, s[0:3], 0 offen
	buffer_load_dword v15, v1, s[0:3], 0 offen offset:4
	buffer_load_dword v16, v1, s[0:3], 0 offen offset:8
	;; [unrolled: 1-line block ×3, first 2 shown]
	v_lshlrev_b64 v[12:13], 4, v[12:13]
	v_mov_b32_e32 v1, s45
	v_add_co_u32_e64 v12, s[12:13], s44, v12
	v_addc_co_u32_e64 v13, s[12:13], v1, v13, s[12:13]
	s_waitcnt vmcnt(0)
	global_store_dwordx4 v[12:13], v[14:17], off
	s_or_b64 exec, exec, s[14:15]
	s_and_saveexec_b64 s[12:13], s[10:11]
	s_cbranch_execz .LBB72_46
.LBB72_62:                              ;   in Loop: Header=BB72_3 Depth=1
	v_mov_b32_e32 v1, s56
	buffer_load_dword v12, v1, s[0:3], 0 offen
	buffer_load_dword v13, v1, s[0:3], 0 offen offset:4
	buffer_load_dword v14, v1, s[0:3], 0 offen offset:8
	buffer_load_dword v15, v1, s[0:3], 0 offen offset:12
	v_lshlrev_b64 v[10:11], 4, v[10:11]
	v_mov_b32_e32 v1, s45
	v_add_co_u32_e64 v10, s[10:11], s44, v10
	v_addc_co_u32_e64 v11, s[10:11], v1, v11, s[10:11]
	s_waitcnt vmcnt(0)
	global_store_dwordx4 v[10:11], v[12:15], off
	s_or_b64 exec, exec, s[12:13]
	s_and_saveexec_b64 s[10:11], s[8:9]
	s_cbranch_execz .LBB72_47
.LBB72_63:                              ;   in Loop: Header=BB72_3 Depth=1
	v_mov_b32_e32 v1, s57
	buffer_load_dword v10, v1, s[0:3], 0 offen
	buffer_load_dword v11, v1, s[0:3], 0 offen offset:4
	buffer_load_dword v12, v1, s[0:3], 0 offen offset:8
	;; [unrolled: 1-line block ×3, first 2 shown]
	v_lshlrev_b64 v[8:9], 4, v[8:9]
	v_mov_b32_e32 v1, s45
	v_add_co_u32_e64 v8, s[8:9], s44, v8
	v_addc_co_u32_e64 v9, s[8:9], v1, v9, s[8:9]
	s_waitcnt vmcnt(0)
	global_store_dwordx4 v[8:9], v[10:13], off
	s_or_b64 exec, exec, s[10:11]
	s_and_saveexec_b64 s[8:9], s[6:7]
	s_cbranch_execz .LBB72_48
.LBB72_64:                              ;   in Loop: Header=BB72_3 Depth=1
	v_mov_b32_e32 v1, s58
	buffer_load_dword v8, v1, s[0:3], 0 offen
	buffer_load_dword v9, v1, s[0:3], 0 offen offset:4
	buffer_load_dword v10, v1, s[0:3], 0 offen offset:8
	;; [unrolled: 1-line block ×3, first 2 shown]
	v_lshlrev_b64 v[6:7], 4, v[6:7]
	v_mov_b32_e32 v1, s45
	v_add_co_u32_e64 v6, s[6:7], s44, v6
	v_addc_co_u32_e64 v7, s[6:7], v1, v7, s[6:7]
	s_waitcnt vmcnt(0)
	global_store_dwordx4 v[6:7], v[8:11], off
	s_or_b64 exec, exec, s[8:9]
	s_and_saveexec_b64 s[6:7], s[4:5]
	s_cbranch_execz .LBB72_49
.LBB72_65:                              ;   in Loop: Header=BB72_3 Depth=1
	v_mov_b32_e32 v1, s59
	buffer_load_dword v6, v1, s[0:3], 0 offen
	buffer_load_dword v7, v1, s[0:3], 0 offen offset:4
	buffer_load_dword v8, v1, s[0:3], 0 offen offset:8
	;; [unrolled: 1-line block ×3, first 2 shown]
	v_lshlrev_b64 v[4:5], 4, v[4:5]
	v_mov_b32_e32 v1, s45
	v_add_co_u32_e64 v4, s[4:5], s44, v4
	v_addc_co_u32_e64 v5, s[4:5], v1, v5, s[4:5]
	s_waitcnt vmcnt(0)
	global_store_dwordx4 v[4:5], v[6:9], off
	s_or_b64 exec, exec, s[6:7]
	s_and_saveexec_b64 s[4:5], vcc
	s_cbranch_execz .LBB72_2
.LBB72_66:                              ;   in Loop: Header=BB72_3 Depth=1
	v_mov_b32_e32 v1, s60
	buffer_load_dword v4, v1, s[0:3], 0 offen
	buffer_load_dword v5, v1, s[0:3], 0 offen offset:4
	buffer_load_dword v6, v1, s[0:3], 0 offen offset:8
	;; [unrolled: 1-line block ×3, first 2 shown]
	v_lshlrev_b64 v[1:2], 4, v[2:3]
	v_mov_b32_e32 v3, s45
	v_add_co_u32_e32 v1, vcc, s44, v1
	v_addc_co_u32_e32 v2, vcc, v3, v2, vcc
	s_waitcnt vmcnt(0)
	global_store_dwordx4 v[1:2], v[4:7], off
	s_branch .LBB72_2
.LBB72_67:
	s_endpgm
	.section	.rodata,"a",@progbits
	.p2align	6, 0x0
	.amdhsa_kernel _ZN9rocsolver6v33100L11stedc_copyCI19rocblas_complex_numIdEPS3_S4_EEviT0_iilT1_iil
		.amdhsa_group_segment_fixed_size 0
		.amdhsa_private_segment_fixed_size 272
		.amdhsa_kernarg_size 312
		.amdhsa_user_sgpr_count 6
		.amdhsa_user_sgpr_private_segment_buffer 1
		.amdhsa_user_sgpr_dispatch_ptr 0
		.amdhsa_user_sgpr_queue_ptr 0
		.amdhsa_user_sgpr_kernarg_segment_ptr 1
		.amdhsa_user_sgpr_dispatch_id 0
		.amdhsa_user_sgpr_flat_scratch_init 0
		.amdhsa_user_sgpr_private_segment_size 0
		.amdhsa_uses_dynamic_stack 0
		.amdhsa_system_sgpr_private_segment_wavefront_offset 1
		.amdhsa_system_sgpr_workgroup_id_x 1
		.amdhsa_system_sgpr_workgroup_id_y 1
		.amdhsa_system_sgpr_workgroup_id_z 0
		.amdhsa_system_sgpr_workgroup_info 0
		.amdhsa_system_vgpr_workitem_id 0
		.amdhsa_next_free_vgpr 38
		.amdhsa_next_free_sgpr 76
		.amdhsa_reserve_vcc 1
		.amdhsa_reserve_flat_scratch 0
		.amdhsa_float_round_mode_32 0
		.amdhsa_float_round_mode_16_64 0
		.amdhsa_float_denorm_mode_32 3
		.amdhsa_float_denorm_mode_16_64 3
		.amdhsa_dx10_clamp 1
		.amdhsa_ieee_mode 1
		.amdhsa_fp16_overflow 0
		.amdhsa_exception_fp_ieee_invalid_op 0
		.amdhsa_exception_fp_denorm_src 0
		.amdhsa_exception_fp_ieee_div_zero 0
		.amdhsa_exception_fp_ieee_overflow 0
		.amdhsa_exception_fp_ieee_underflow 0
		.amdhsa_exception_fp_ieee_inexact 0
		.amdhsa_exception_int_div_zero 0
	.end_amdhsa_kernel
	.section	.text._ZN9rocsolver6v33100L11stedc_copyCI19rocblas_complex_numIdEPS3_S4_EEviT0_iilT1_iil,"axG",@progbits,_ZN9rocsolver6v33100L11stedc_copyCI19rocblas_complex_numIdEPS3_S4_EEviT0_iilT1_iil,comdat
.Lfunc_end72:
	.size	_ZN9rocsolver6v33100L11stedc_copyCI19rocblas_complex_numIdEPS3_S4_EEviT0_iilT1_iil, .Lfunc_end72-_ZN9rocsolver6v33100L11stedc_copyCI19rocblas_complex_numIdEPS3_S4_EEviT0_iilT1_iil
                                        ; -- End function
	.set _ZN9rocsolver6v33100L11stedc_copyCI19rocblas_complex_numIdEPS3_S4_EEviT0_iilT1_iil.num_vgpr, 38
	.set _ZN9rocsolver6v33100L11stedc_copyCI19rocblas_complex_numIdEPS3_S4_EEviT0_iilT1_iil.num_agpr, 0
	.set _ZN9rocsolver6v33100L11stedc_copyCI19rocblas_complex_numIdEPS3_S4_EEviT0_iilT1_iil.numbered_sgpr, 76
	.set _ZN9rocsolver6v33100L11stedc_copyCI19rocblas_complex_numIdEPS3_S4_EEviT0_iilT1_iil.num_named_barrier, 0
	.set _ZN9rocsolver6v33100L11stedc_copyCI19rocblas_complex_numIdEPS3_S4_EEviT0_iilT1_iil.private_seg_size, 272
	.set _ZN9rocsolver6v33100L11stedc_copyCI19rocblas_complex_numIdEPS3_S4_EEviT0_iilT1_iil.uses_vcc, 1
	.set _ZN9rocsolver6v33100L11stedc_copyCI19rocblas_complex_numIdEPS3_S4_EEviT0_iilT1_iil.uses_flat_scratch, 0
	.set _ZN9rocsolver6v33100L11stedc_copyCI19rocblas_complex_numIdEPS3_S4_EEviT0_iilT1_iil.has_dyn_sized_stack, 0
	.set _ZN9rocsolver6v33100L11stedc_copyCI19rocblas_complex_numIdEPS3_S4_EEviT0_iilT1_iil.has_recursion, 0
	.set _ZN9rocsolver6v33100L11stedc_copyCI19rocblas_complex_numIdEPS3_S4_EEviT0_iilT1_iil.has_indirect_call, 0
	.section	.AMDGPU.csdata,"",@progbits
; Kernel info:
; codeLenInByte = 3656
; TotalNumSgprs: 80
; NumVgprs: 38
; ScratchSize: 272
; MemoryBound: 0
; FloatMode: 240
; IeeeMode: 1
; LDSByteSize: 0 bytes/workgroup (compile time only)
; SGPRBlocks: 9
; VGPRBlocks: 9
; NumSGPRsForWavesPerEU: 80
; NumVGPRsForWavesPerEU: 38
; Occupancy: 6
; WaveLimiterHint : 0
; COMPUTE_PGM_RSRC2:SCRATCH_EN: 1
; COMPUTE_PGM_RSRC2:USER_SGPR: 6
; COMPUTE_PGM_RSRC2:TRAP_HANDLER: 0
; COMPUTE_PGM_RSRC2:TGID_X_EN: 1
; COMPUTE_PGM_RSRC2:TGID_Y_EN: 1
; COMPUTE_PGM_RSRC2:TGID_Z_EN: 0
; COMPUTE_PGM_RSRC2:TIDIG_COMP_CNT: 0
	.section	.text._ZN9rocsolver6v33100L10stedc_sortI19rocblas_complex_numIdEdPS3_S4_EEviPT0_lS6_lT1_iilT2_iil,"axG",@progbits,_ZN9rocsolver6v33100L10stedc_sortI19rocblas_complex_numIdEdPS3_S4_EEviPT0_lS6_lT1_iilT2_iil,comdat
	.globl	_ZN9rocsolver6v33100L10stedc_sortI19rocblas_complex_numIdEdPS3_S4_EEviPT0_lS6_lT1_iilT2_iil ; -- Begin function _ZN9rocsolver6v33100L10stedc_sortI19rocblas_complex_numIdEdPS3_S4_EEviPT0_lS6_lT1_iilT2_iil
	.p2align	8
	.type	_ZN9rocsolver6v33100L10stedc_sortI19rocblas_complex_numIdEdPS3_S4_EEviPT0_lS6_lT1_iilT2_iil,@function
_ZN9rocsolver6v33100L10stedc_sortI19rocblas_complex_numIdEdPS3_S4_EEviPT0_lS6_lT1_iilT2_iil: ; @_ZN9rocsolver6v33100L10stedc_sortI19rocblas_complex_numIdEdPS3_S4_EEviPT0_lS6_lT1_iilT2_iil
; %bb.0:
	s_load_dwordx8 s[40:47], s[6:7], 0x8
	s_add_u32 s0, s0, s10
	s_addc_u32 s1, s1, 0
	s_ashr_i32 s72, s9, 31
	s_mov_b32 s33, s9
	s_waitcnt lgkmcnt(0)
	s_mul_hi_u32 s9, s42, s9
	s_mul_i32 s10, s42, s72
	s_add_i32 s9, s9, s10
	s_mul_i32 s10, s43, s33
	s_add_i32 s11, s9, s10
	s_mul_i32 s10, s42, s33
	s_lshl_b64 s[10:11], s[10:11], 3
	s_load_dword s12, s[6:7], 0x64
	s_add_u32 s73, s40, s10
	s_addc_u32 s74, s41, s11
	s_ashr_i32 s9, s8, 31
	s_lshl_b64 s[50:51], s[8:9], 3
	s_add_u32 s10, s73, s50
	s_addc_u32 s11, s74, s51
	s_waitcnt lgkmcnt(0)
	s_and_b32 s58, s12, 0xffff
	s_lshl_b32 s59, s58, 4
	v_cvt_f32_u32_e32 v3, s59
	s_load_dword s60, s[6:7], 0x0
	s_load_dwordx2 s[48:49], s[6:7], 0x28
	s_load_dwordx2 s[52:53], s[10:11], 0x0
	s_sub_i32 s11, 0, s59
	v_rcp_iflag_f32_e32 v3, v3
	s_mul_i32 s61, s58, 3
	s_waitcnt lgkmcnt(0)
	s_add_i32 s9, s60, -1
	s_ashr_i32 s10, s9, 31
	v_mul_f32_e32 v3, 0x4f7ffffe, v3
	v_cvt_u32_f32_e32 v3, v3
	s_abs_i32 s9, s9
	s_mul_i32 s62, s58, 5
	s_mul_i32 s63, s58, 6
	v_readfirstlane_b32 s12, v3
	s_mul_i32 s11, s11, s12
	s_mul_hi_u32 s11, s12, s11
	s_add_i32 s12, s12, s11
	s_mul_hi_u32 s11, s9, s12
	s_mul_i32 s12, s11, s59
	s_sub_i32 s9, s9, s12
	s_add_i32 s12, s11, 1
	s_sub_i32 s13, s9, s59
	s_cmp_ge_u32 s9, s59
	s_cselect_b32 s11, s12, s11
	s_cselect_b32 s9, s13, s9
	s_add_i32 s12, s11, 1
	s_cmp_ge_u32 s9, s59
	s_cselect_b32 s9, s12, s11
	s_xor_b32 s9, s9, s10
	s_sub_i32 s9, s9, s10
	s_cmp_gt_i32 s9, -1
	s_cselect_b64 s[54:55], -1, 0
	s_cmp_lt_i32 s9, 0
	s_mul_i32 s64, s58, 7
	s_mul_i32 s65, s58, 9
	;; [unrolled: 1-line block ×8, first 2 shown]
	s_cbranch_scc1 .LBB73_67
; %bb.1:
	s_add_i32 s75, s9, 1
	s_lshl_b32 s76, s58, 1
	s_lshl_b32 s77, s58, 2
	;; [unrolled: 1-line block ×3, first 2 shown]
	v_mov_b32_e32 v66, 0
	v_mov_b32_e32 v35, v0
	;; [unrolled: 1-line block ×4, first 2 shown]
                                        ; implicit-def: $vgpr5_vgpr6
                                        ; implicit-def: $vgpr9_vgpr10
                                        ; implicit-def: $vgpr13_vgpr14
                                        ; implicit-def: $vgpr33_vgpr34
                                        ; implicit-def: $vgpr29_vgpr30
                                        ; implicit-def: $vgpr25_vgpr26
                                        ; implicit-def: $vgpr21_vgpr22
                                        ; implicit-def: $vgpr17_vgpr18
	s_branch .LBB73_3
.LBB73_2:                               ;   in Loop: Header=BB73_3 Depth=1
	s_or_b64 exec, exec, s[12:13]
	s_add_i32 s75, s75, -1
	s_cmp_eq_u32 s75, 0
	v_add_u32_e32 v35, s59, v35
	s_cbranch_scc1 .LBB73_68
.LBB73_3:                               ; =>This Inner Loop Header: Depth=1
	v_cmp_gt_i32_e64 s[40:41], s60, v35
	s_and_saveexec_b64 s[10:11], s[40:41]
	s_cbranch_execz .LBB73_5
; %bb.4:                                ;   in Loop: Header=BB73_3 Depth=1
	v_ashrrev_i32_e32 v36, 31, v35
	s_waitcnt vmcnt(0)
	v_lshlrev_b64 v[15:16], 3, v[35:36]
	v_mov_b32_e32 v36, s74
	v_add_co_u32_e32 v15, vcc, s73, v15
	v_addc_co_u32_e32 v16, vcc, v36, v16, vcc
	global_load_dwordx2 v[15:16], v[15:16], off
.LBB73_5:                               ;   in Loop: Header=BB73_3 Depth=1
	s_or_b64 exec, exec, s[10:11]
	v_add_u32_e32 v64, s58, v35
	v_cmp_gt_i32_e64 s[38:39], s60, v64
	s_and_saveexec_b64 s[10:11], s[38:39]
	s_cbranch_execz .LBB73_7
; %bb.6:                                ;   in Loop: Header=BB73_3 Depth=1
	v_ashrrev_i32_e32 v65, 31, v64
	s_waitcnt vmcnt(0)
	v_lshlrev_b64 v[17:18], 3, v[64:65]
	v_mov_b32_e32 v36, s74
	v_add_co_u32_e32 v17, vcc, s73, v17
	v_addc_co_u32_e32 v18, vcc, v36, v18, vcc
	global_load_dwordx2 v[17:18], v[17:18], off
.LBB73_7:                               ;   in Loop: Header=BB73_3 Depth=1
	s_or_b64 exec, exec, s[10:11]
	v_add_u32_e32 v62, s76, v35
	v_cmp_gt_i32_e64 s[36:37], s60, v62
	s_and_saveexec_b64 s[10:11], s[36:37]
	s_cbranch_execz .LBB73_9
; %bb.8:                                ;   in Loop: Header=BB73_3 Depth=1
	v_ashrrev_i32_e32 v63, 31, v62
	s_waitcnt vmcnt(0)
	v_lshlrev_b64 v[19:20], 3, v[62:63]
	v_mov_b32_e32 v36, s74
	v_add_co_u32_e32 v19, vcc, s73, v19
	v_addc_co_u32_e32 v20, vcc, v36, v20, vcc
	global_load_dwordx2 v[19:20], v[19:20], off
.LBB73_9:                               ;   in Loop: Header=BB73_3 Depth=1
	s_or_b64 exec, exec, s[10:11]
	v_add_u32_e32 v60, s61, v35
	v_cmp_gt_i32_e64 s[34:35], s60, v60
	s_and_saveexec_b64 s[10:11], s[34:35]
	s_cbranch_execz .LBB73_11
; %bb.10:                               ;   in Loop: Header=BB73_3 Depth=1
	v_ashrrev_i32_e32 v61, 31, v60
	s_waitcnt vmcnt(0)
	v_lshlrev_b64 v[21:22], 3, v[60:61]
	v_mov_b32_e32 v36, s74
	v_add_co_u32_e32 v21, vcc, s73, v21
	v_addc_co_u32_e32 v22, vcc, v36, v22, vcc
	global_load_dwordx2 v[21:22], v[21:22], off
.LBB73_11:                              ;   in Loop: Header=BB73_3 Depth=1
	s_or_b64 exec, exec, s[10:11]
	v_add_u32_e32 v58, s77, v35
	v_cmp_gt_i32_e64 s[30:31], s60, v58
	s_and_saveexec_b64 s[10:11], s[30:31]
	s_cbranch_execz .LBB73_13
; %bb.12:                               ;   in Loop: Header=BB73_3 Depth=1
	v_ashrrev_i32_e32 v59, 31, v58
	s_waitcnt vmcnt(0)
	v_lshlrev_b64 v[23:24], 3, v[58:59]
	v_mov_b32_e32 v36, s74
	v_add_co_u32_e32 v23, vcc, s73, v23
	v_addc_co_u32_e32 v24, vcc, v36, v24, vcc
	global_load_dwordx2 v[23:24], v[23:24], off
.LBB73_13:                              ;   in Loop: Header=BB73_3 Depth=1
	s_or_b64 exec, exec, s[10:11]
	v_add_u32_e32 v56, s62, v35
	v_cmp_gt_i32_e64 s[28:29], s60, v56
	s_and_saveexec_b64 s[10:11], s[28:29]
	s_cbranch_execz .LBB73_15
; %bb.14:                               ;   in Loop: Header=BB73_3 Depth=1
	v_ashrrev_i32_e32 v57, 31, v56
	s_waitcnt vmcnt(0)
	v_lshlrev_b64 v[25:26], 3, v[56:57]
	v_mov_b32_e32 v36, s74
	v_add_co_u32_e32 v25, vcc, s73, v25
	v_addc_co_u32_e32 v26, vcc, v36, v26, vcc
	global_load_dwordx2 v[25:26], v[25:26], off
.LBB73_15:                              ;   in Loop: Header=BB73_3 Depth=1
	s_or_b64 exec, exec, s[10:11]
	v_add_u32_e32 v54, s63, v35
	v_cmp_gt_i32_e64 s[26:27], s60, v54
	s_and_saveexec_b64 s[10:11], s[26:27]
	s_cbranch_execz .LBB73_17
; %bb.16:                               ;   in Loop: Header=BB73_3 Depth=1
	v_ashrrev_i32_e32 v55, 31, v54
	s_waitcnt vmcnt(0)
	v_lshlrev_b64 v[27:28], 3, v[54:55]
	v_mov_b32_e32 v36, s74
	v_add_co_u32_e32 v27, vcc, s73, v27
	v_addc_co_u32_e32 v28, vcc, v36, v28, vcc
	global_load_dwordx2 v[27:28], v[27:28], off
.LBB73_17:                              ;   in Loop: Header=BB73_3 Depth=1
	s_or_b64 exec, exec, s[10:11]
	v_add_u32_e32 v52, s64, v35
	v_cmp_gt_i32_e64 s[24:25], s60, v52
	s_and_saveexec_b64 s[10:11], s[24:25]
	s_cbranch_execz .LBB73_19
; %bb.18:                               ;   in Loop: Header=BB73_3 Depth=1
	v_ashrrev_i32_e32 v53, 31, v52
	s_waitcnt vmcnt(0)
	v_lshlrev_b64 v[29:30], 3, v[52:53]
	v_mov_b32_e32 v36, s74
	v_add_co_u32_e32 v29, vcc, s73, v29
	v_addc_co_u32_e32 v30, vcc, v36, v30, vcc
	global_load_dwordx2 v[29:30], v[29:30], off
.LBB73_19:                              ;   in Loop: Header=BB73_3 Depth=1
	s_or_b64 exec, exec, s[10:11]
	v_add_u32_e32 v50, s78, v35
	v_cmp_gt_i32_e64 s[22:23], s60, v50
	s_and_saveexec_b64 s[10:11], s[22:23]
	s_cbranch_execz .LBB73_21
; %bb.20:                               ;   in Loop: Header=BB73_3 Depth=1
	v_ashrrev_i32_e32 v51, 31, v50
	s_waitcnt vmcnt(0)
	v_lshlrev_b64 v[31:32], 3, v[50:51]
	v_mov_b32_e32 v36, s74
	v_add_co_u32_e32 v31, vcc, s73, v31
	v_addc_co_u32_e32 v32, vcc, v36, v32, vcc
	global_load_dwordx2 v[31:32], v[31:32], off
.LBB73_21:                              ;   in Loop: Header=BB73_3 Depth=1
	s_or_b64 exec, exec, s[10:11]
	v_add_u32_e32 v48, s65, v35
	v_cmp_gt_i32_e64 s[20:21], s60, v48
	s_and_saveexec_b64 s[10:11], s[20:21]
	s_cbranch_execz .LBB73_23
; %bb.22:                               ;   in Loop: Header=BB73_3 Depth=1
	v_ashrrev_i32_e32 v49, 31, v48
	s_waitcnt vmcnt(0)
	v_lshlrev_b64 v[33:34], 3, v[48:49]
	v_mov_b32_e32 v36, s74
	v_add_co_u32_e32 v33, vcc, s73, v33
	v_addc_co_u32_e32 v34, vcc, v36, v34, vcc
	global_load_dwordx2 v[33:34], v[33:34], off
.LBB73_23:                              ;   in Loop: Header=BB73_3 Depth=1
	s_or_b64 exec, exec, s[10:11]
	v_add_u32_e32 v46, s66, v35
	v_cmp_gt_i32_e64 s[18:19], s60, v46
	s_and_saveexec_b64 s[10:11], s[18:19]
	s_cbranch_execz .LBB73_25
; %bb.24:                               ;   in Loop: Header=BB73_3 Depth=1
	v_ashrrev_i32_e32 v47, 31, v46
	s_waitcnt vmcnt(0)
	v_lshlrev_b64 v[11:12], 3, v[46:47]
	v_mov_b32_e32 v36, s74
	v_add_co_u32_e32 v11, vcc, s73, v11
	v_addc_co_u32_e32 v12, vcc, v36, v12, vcc
	global_load_dwordx2 v[11:12], v[11:12], off
.LBB73_25:                              ;   in Loop: Header=BB73_3 Depth=1
	s_or_b64 exec, exec, s[10:11]
	v_add_u32_e32 v44, s67, v35
	v_cmp_gt_i32_e64 s[16:17], s60, v44
	s_and_saveexec_b64 s[10:11], s[16:17]
	s_cbranch_execz .LBB73_27
; %bb.26:                               ;   in Loop: Header=BB73_3 Depth=1
	v_ashrrev_i32_e32 v45, 31, v44
	s_waitcnt vmcnt(0)
	v_lshlrev_b64 v[13:14], 3, v[44:45]
	v_mov_b32_e32 v36, s74
	v_add_co_u32_e32 v13, vcc, s73, v13
	v_addc_co_u32_e32 v14, vcc, v36, v14, vcc
	global_load_dwordx2 v[13:14], v[13:14], off
.LBB73_27:                              ;   in Loop: Header=BB73_3 Depth=1
	s_or_b64 exec, exec, s[10:11]
	v_add_u32_e32 v42, s68, v35
	v_cmp_gt_i32_e64 s[14:15], s60, v42
	s_and_saveexec_b64 s[10:11], s[14:15]
	s_cbranch_execz .LBB73_29
; %bb.28:                               ;   in Loop: Header=BB73_3 Depth=1
	v_ashrrev_i32_e32 v43, 31, v42
	s_waitcnt vmcnt(0)
	v_lshlrev_b64 v[7:8], 3, v[42:43]
	v_mov_b32_e32 v36, s74
	v_add_co_u32_e32 v7, vcc, s73, v7
	v_addc_co_u32_e32 v8, vcc, v36, v8, vcc
	global_load_dwordx2 v[7:8], v[7:8], off
.LBB73_29:                              ;   in Loop: Header=BB73_3 Depth=1
	s_or_b64 exec, exec, s[10:11]
	v_add_u32_e32 v40, s69, v35
	v_cmp_gt_i32_e64 s[12:13], s60, v40
	s_and_saveexec_b64 s[10:11], s[12:13]
	s_cbranch_execz .LBB73_31
; %bb.30:                               ;   in Loop: Header=BB73_3 Depth=1
	v_ashrrev_i32_e32 v41, 31, v40
	s_waitcnt vmcnt(0)
	v_lshlrev_b64 v[9:10], 3, v[40:41]
	v_mov_b32_e32 v36, s74
	v_add_co_u32_e32 v9, vcc, s73, v9
	v_addc_co_u32_e32 v10, vcc, v36, v10, vcc
	global_load_dwordx2 v[9:10], v[9:10], off
.LBB73_31:                              ;   in Loop: Header=BB73_3 Depth=1
	s_or_b64 exec, exec, s[10:11]
	v_add_u32_e32 v38, s70, v35
	v_cmp_gt_i32_e64 s[10:11], s60, v38
	s_and_saveexec_b64 s[42:43], s[10:11]
	s_cbranch_execz .LBB73_33
; %bb.32:                               ;   in Loop: Header=BB73_3 Depth=1
	v_ashrrev_i32_e32 v39, 31, v38
	s_waitcnt vmcnt(0)
	v_lshlrev_b64 v[3:4], 3, v[38:39]
	v_mov_b32_e32 v36, s74
	v_add_co_u32_e32 v3, vcc, s73, v3
	v_addc_co_u32_e32 v4, vcc, v36, v4, vcc
	global_load_dwordx2 v[3:4], v[3:4], off
.LBB73_33:                              ;   in Loop: Header=BB73_3 Depth=1
	s_or_b64 exec, exec, s[42:43]
	v_add_u32_e32 v36, s71, v35
	v_cmp_gt_i32_e32 vcc, s60, v36
	s_and_saveexec_b64 s[56:57], vcc
	s_cbranch_execnz .LBB73_50
; %bb.34:                               ;   in Loop: Header=BB73_3 Depth=1
	s_or_b64 exec, exec, s[56:57]
	s_and_saveexec_b64 s[56:57], s[40:41]
	s_cbranch_execnz .LBB73_51
.LBB73_35:                              ;   in Loop: Header=BB73_3 Depth=1
	s_or_b64 exec, exec, s[56:57]
	s_and_saveexec_b64 s[42:43], s[38:39]
	s_cbranch_execnz .LBB73_52
.LBB73_36:                              ;   in Loop: Header=BB73_3 Depth=1
	s_or_b64 exec, exec, s[42:43]
	s_and_saveexec_b64 s[40:41], s[36:37]
	s_cbranch_execnz .LBB73_53
.LBB73_37:                              ;   in Loop: Header=BB73_3 Depth=1
	s_or_b64 exec, exec, s[40:41]
	s_and_saveexec_b64 s[38:39], s[34:35]
	s_cbranch_execnz .LBB73_54
.LBB73_38:                              ;   in Loop: Header=BB73_3 Depth=1
	s_or_b64 exec, exec, s[38:39]
	s_and_saveexec_b64 s[36:37], s[30:31]
	s_cbranch_execnz .LBB73_55
.LBB73_39:                              ;   in Loop: Header=BB73_3 Depth=1
	s_or_b64 exec, exec, s[36:37]
	s_and_saveexec_b64 s[34:35], s[28:29]
	s_cbranch_execnz .LBB73_56
.LBB73_40:                              ;   in Loop: Header=BB73_3 Depth=1
	s_or_b64 exec, exec, s[34:35]
	s_and_saveexec_b64 s[30:31], s[26:27]
	s_cbranch_execnz .LBB73_57
.LBB73_41:                              ;   in Loop: Header=BB73_3 Depth=1
	s_or_b64 exec, exec, s[30:31]
	s_and_saveexec_b64 s[28:29], s[24:25]
	s_cbranch_execnz .LBB73_58
.LBB73_42:                              ;   in Loop: Header=BB73_3 Depth=1
	s_or_b64 exec, exec, s[28:29]
	s_and_saveexec_b64 s[26:27], s[22:23]
	s_cbranch_execnz .LBB73_59
.LBB73_43:                              ;   in Loop: Header=BB73_3 Depth=1
	s_or_b64 exec, exec, s[26:27]
	s_and_saveexec_b64 s[24:25], s[20:21]
	s_cbranch_execnz .LBB73_60
.LBB73_44:                              ;   in Loop: Header=BB73_3 Depth=1
	s_or_b64 exec, exec, s[24:25]
	s_and_saveexec_b64 s[22:23], s[18:19]
	s_cbranch_execnz .LBB73_61
.LBB73_45:                              ;   in Loop: Header=BB73_3 Depth=1
	s_or_b64 exec, exec, s[22:23]
	s_and_saveexec_b64 s[20:21], s[16:17]
	s_cbranch_execnz .LBB73_62
.LBB73_46:                              ;   in Loop: Header=BB73_3 Depth=1
	s_or_b64 exec, exec, s[20:21]
	s_and_saveexec_b64 s[18:19], s[14:15]
	s_cbranch_execnz .LBB73_63
.LBB73_47:                              ;   in Loop: Header=BB73_3 Depth=1
	s_or_b64 exec, exec, s[18:19]
	s_and_saveexec_b64 s[16:17], s[12:13]
	s_cbranch_execnz .LBB73_64
.LBB73_48:                              ;   in Loop: Header=BB73_3 Depth=1
	s_or_b64 exec, exec, s[16:17]
	s_and_saveexec_b64 s[14:15], s[10:11]
	s_cbranch_execnz .LBB73_65
.LBB73_49:                              ;   in Loop: Header=BB73_3 Depth=1
	s_or_b64 exec, exec, s[14:15]
	s_and_saveexec_b64 s[12:13], vcc
	s_cbranch_execz .LBB73_2
	s_branch .LBB73_66
.LBB73_50:                              ;   in Loop: Header=BB73_3 Depth=1
	v_ashrrev_i32_e32 v37, 31, v36
	s_waitcnt vmcnt(0)
	v_lshlrev_b64 v[5:6], 3, v[36:37]
	v_mov_b32_e32 v37, s74
	v_add_co_u32_e64 v5, s[42:43], s73, v5
	v_addc_co_u32_e64 v6, s[42:43], v37, v6, s[42:43]
	global_load_dwordx2 v[5:6], v[5:6], off
	s_or_b64 exec, exec, s[56:57]
	s_and_saveexec_b64 s[56:57], s[40:41]
	s_cbranch_execz .LBB73_35
.LBB73_51:                              ;   in Loop: Header=BB73_3 Depth=1
	s_waitcnt vmcnt(0)
	v_cmp_u_f64_e64 s[42:43], v[15:16], v[15:16]
	v_cmp_eq_f64_e64 s[40:41], s[52:53], v[15:16]
	v_addc_co_u32_e64 v66, s[42:43], 0, v66, s[42:43]
	v_cmp_gt_f64_e64 s[42:43], s[52:53], v[15:16]
	v_addc_co_u32_e64 v67, s[42:43], 0, v67, s[42:43]
	v_cmp_gt_i32_e64 s[42:43], s8, v35
	s_and_b64 s[40:41], s[42:43], s[40:41]
	v_addc_co_u32_e64 v68, s[40:41], 0, v68, s[40:41]
	s_or_b64 exec, exec, s[56:57]
	s_and_saveexec_b64 s[42:43], s[38:39]
	s_cbranch_execz .LBB73_36
.LBB73_52:                              ;   in Loop: Header=BB73_3 Depth=1
	s_waitcnt vmcnt(0)
	v_cmp_u_f64_e64 s[40:41], v[17:18], v[17:18]
	v_cmp_eq_f64_e64 s[38:39], s[52:53], v[17:18]
	v_addc_co_u32_e64 v66, s[40:41], 0, v66, s[40:41]
	v_cmp_gt_f64_e64 s[40:41], s[52:53], v[17:18]
	v_addc_co_u32_e64 v67, s[40:41], 0, v67, s[40:41]
	v_cmp_gt_i32_e64 s[40:41], s8, v64
	s_and_b64 s[38:39], s[40:41], s[38:39]
	v_addc_co_u32_e64 v68, s[38:39], 0, v68, s[38:39]
	s_or_b64 exec, exec, s[42:43]
	s_and_saveexec_b64 s[40:41], s[36:37]
	s_cbranch_execz .LBB73_37
.LBB73_53:                              ;   in Loop: Header=BB73_3 Depth=1
	s_waitcnt vmcnt(0)
	v_cmp_u_f64_e64 s[38:39], v[19:20], v[19:20]
	v_cmp_eq_f64_e64 s[36:37], s[52:53], v[19:20]
	v_addc_co_u32_e64 v66, s[38:39], 0, v66, s[38:39]
	v_cmp_gt_f64_e64 s[38:39], s[52:53], v[19:20]
	v_addc_co_u32_e64 v67, s[38:39], 0, v67, s[38:39]
	v_cmp_gt_i32_e64 s[38:39], s8, v62
	s_and_b64 s[36:37], s[38:39], s[36:37]
	v_addc_co_u32_e64 v68, s[36:37], 0, v68, s[36:37]
	s_or_b64 exec, exec, s[40:41]
	s_and_saveexec_b64 s[38:39], s[34:35]
	s_cbranch_execz .LBB73_38
.LBB73_54:                              ;   in Loop: Header=BB73_3 Depth=1
	s_waitcnt vmcnt(0)
	v_cmp_u_f64_e64 s[36:37], v[21:22], v[21:22]
	v_cmp_eq_f64_e64 s[34:35], s[52:53], v[21:22]
	v_addc_co_u32_e64 v66, s[36:37], 0, v66, s[36:37]
	v_cmp_gt_f64_e64 s[36:37], s[52:53], v[21:22]
	v_addc_co_u32_e64 v67, s[36:37], 0, v67, s[36:37]
	v_cmp_gt_i32_e64 s[36:37], s8, v60
	s_and_b64 s[34:35], s[36:37], s[34:35]
	v_addc_co_u32_e64 v68, s[34:35], 0, v68, s[34:35]
	s_or_b64 exec, exec, s[38:39]
	s_and_saveexec_b64 s[36:37], s[30:31]
	s_cbranch_execz .LBB73_39
.LBB73_55:                              ;   in Loop: Header=BB73_3 Depth=1
	s_waitcnt vmcnt(0)
	v_cmp_u_f64_e64 s[34:35], v[23:24], v[23:24]
	v_cmp_eq_f64_e64 s[30:31], s[52:53], v[23:24]
	v_addc_co_u32_e64 v66, s[34:35], 0, v66, s[34:35]
	v_cmp_gt_f64_e64 s[34:35], s[52:53], v[23:24]
	v_addc_co_u32_e64 v67, s[34:35], 0, v67, s[34:35]
	v_cmp_gt_i32_e64 s[34:35], s8, v58
	s_and_b64 s[30:31], s[34:35], s[30:31]
	v_addc_co_u32_e64 v68, s[30:31], 0, v68, s[30:31]
	s_or_b64 exec, exec, s[36:37]
	s_and_saveexec_b64 s[34:35], s[28:29]
	s_cbranch_execz .LBB73_40
.LBB73_56:                              ;   in Loop: Header=BB73_3 Depth=1
	s_waitcnt vmcnt(0)
	v_cmp_u_f64_e64 s[30:31], v[25:26], v[25:26]
	v_cmp_eq_f64_e64 s[28:29], s[52:53], v[25:26]
	v_addc_co_u32_e64 v66, s[30:31], 0, v66, s[30:31]
	v_cmp_gt_f64_e64 s[30:31], s[52:53], v[25:26]
	v_addc_co_u32_e64 v67, s[30:31], 0, v67, s[30:31]
	v_cmp_gt_i32_e64 s[30:31], s8, v56
	s_and_b64 s[28:29], s[30:31], s[28:29]
	v_addc_co_u32_e64 v68, s[28:29], 0, v68, s[28:29]
	s_or_b64 exec, exec, s[34:35]
	s_and_saveexec_b64 s[30:31], s[26:27]
	s_cbranch_execz .LBB73_41
.LBB73_57:                              ;   in Loop: Header=BB73_3 Depth=1
	s_waitcnt vmcnt(0)
	v_cmp_u_f64_e64 s[28:29], v[27:28], v[27:28]
	v_cmp_eq_f64_e64 s[26:27], s[52:53], v[27:28]
	v_addc_co_u32_e64 v66, s[28:29], 0, v66, s[28:29]
	v_cmp_gt_f64_e64 s[28:29], s[52:53], v[27:28]
	v_addc_co_u32_e64 v67, s[28:29], 0, v67, s[28:29]
	v_cmp_gt_i32_e64 s[28:29], s8, v54
	s_and_b64 s[26:27], s[28:29], s[26:27]
	v_addc_co_u32_e64 v68, s[26:27], 0, v68, s[26:27]
	s_or_b64 exec, exec, s[30:31]
	s_and_saveexec_b64 s[28:29], s[24:25]
	s_cbranch_execz .LBB73_42
.LBB73_58:                              ;   in Loop: Header=BB73_3 Depth=1
	s_waitcnt vmcnt(0)
	v_cmp_u_f64_e64 s[26:27], v[29:30], v[29:30]
	v_cmp_eq_f64_e64 s[24:25], s[52:53], v[29:30]
	v_addc_co_u32_e64 v66, s[26:27], 0, v66, s[26:27]
	v_cmp_gt_f64_e64 s[26:27], s[52:53], v[29:30]
	v_addc_co_u32_e64 v67, s[26:27], 0, v67, s[26:27]
	v_cmp_gt_i32_e64 s[26:27], s8, v52
	s_and_b64 s[24:25], s[26:27], s[24:25]
	v_addc_co_u32_e64 v68, s[24:25], 0, v68, s[24:25]
	s_or_b64 exec, exec, s[28:29]
	s_and_saveexec_b64 s[26:27], s[22:23]
	s_cbranch_execz .LBB73_43
.LBB73_59:                              ;   in Loop: Header=BB73_3 Depth=1
	s_waitcnt vmcnt(0)
	v_cmp_u_f64_e64 s[24:25], v[31:32], v[31:32]
	v_cmp_eq_f64_e64 s[22:23], s[52:53], v[31:32]
	v_addc_co_u32_e64 v66, s[24:25], 0, v66, s[24:25]
	v_cmp_gt_f64_e64 s[24:25], s[52:53], v[31:32]
	v_addc_co_u32_e64 v67, s[24:25], 0, v67, s[24:25]
	v_cmp_gt_i32_e64 s[24:25], s8, v50
	s_and_b64 s[22:23], s[24:25], s[22:23]
	v_addc_co_u32_e64 v68, s[22:23], 0, v68, s[22:23]
	s_or_b64 exec, exec, s[26:27]
	s_and_saveexec_b64 s[24:25], s[20:21]
	s_cbranch_execz .LBB73_44
.LBB73_60:                              ;   in Loop: Header=BB73_3 Depth=1
	s_waitcnt vmcnt(0)
	v_cmp_u_f64_e64 s[22:23], v[33:34], v[33:34]
	v_cmp_eq_f64_e64 s[20:21], s[52:53], v[33:34]
	v_addc_co_u32_e64 v66, s[22:23], 0, v66, s[22:23]
	v_cmp_gt_f64_e64 s[22:23], s[52:53], v[33:34]
	v_addc_co_u32_e64 v67, s[22:23], 0, v67, s[22:23]
	v_cmp_gt_i32_e64 s[22:23], s8, v48
	s_and_b64 s[20:21], s[22:23], s[20:21]
	v_addc_co_u32_e64 v68, s[20:21], 0, v68, s[20:21]
	s_or_b64 exec, exec, s[24:25]
	s_and_saveexec_b64 s[22:23], s[18:19]
	s_cbranch_execz .LBB73_45
.LBB73_61:                              ;   in Loop: Header=BB73_3 Depth=1
	s_waitcnt vmcnt(0)
	v_cmp_u_f64_e64 s[20:21], v[11:12], v[11:12]
	v_cmp_eq_f64_e64 s[18:19], s[52:53], v[11:12]
	v_addc_co_u32_e64 v66, s[20:21], 0, v66, s[20:21]
	v_cmp_gt_f64_e64 s[20:21], s[52:53], v[11:12]
	v_addc_co_u32_e64 v67, s[20:21], 0, v67, s[20:21]
	v_cmp_gt_i32_e64 s[20:21], s8, v46
	s_and_b64 s[18:19], s[20:21], s[18:19]
	v_addc_co_u32_e64 v68, s[18:19], 0, v68, s[18:19]
	s_or_b64 exec, exec, s[22:23]
	s_and_saveexec_b64 s[20:21], s[16:17]
	s_cbranch_execz .LBB73_46
.LBB73_62:                              ;   in Loop: Header=BB73_3 Depth=1
	s_waitcnt vmcnt(0)
	v_cmp_u_f64_e64 s[18:19], v[13:14], v[13:14]
	v_cmp_eq_f64_e64 s[16:17], s[52:53], v[13:14]
	v_addc_co_u32_e64 v66, s[18:19], 0, v66, s[18:19]
	v_cmp_gt_f64_e64 s[18:19], s[52:53], v[13:14]
	v_addc_co_u32_e64 v67, s[18:19], 0, v67, s[18:19]
	v_cmp_gt_i32_e64 s[18:19], s8, v44
	s_and_b64 s[16:17], s[18:19], s[16:17]
	v_addc_co_u32_e64 v68, s[16:17], 0, v68, s[16:17]
	s_or_b64 exec, exec, s[20:21]
	s_and_saveexec_b64 s[18:19], s[14:15]
	s_cbranch_execz .LBB73_47
.LBB73_63:                              ;   in Loop: Header=BB73_3 Depth=1
	s_waitcnt vmcnt(0)
	v_cmp_u_f64_e64 s[16:17], v[7:8], v[7:8]
	v_cmp_eq_f64_e64 s[14:15], s[52:53], v[7:8]
	v_addc_co_u32_e64 v66, s[16:17], 0, v66, s[16:17]
	v_cmp_gt_f64_e64 s[16:17], s[52:53], v[7:8]
	v_addc_co_u32_e64 v67, s[16:17], 0, v67, s[16:17]
	v_cmp_gt_i32_e64 s[16:17], s8, v42
	s_and_b64 s[14:15], s[16:17], s[14:15]
	v_addc_co_u32_e64 v68, s[14:15], 0, v68, s[14:15]
	s_or_b64 exec, exec, s[18:19]
	s_and_saveexec_b64 s[16:17], s[12:13]
	s_cbranch_execz .LBB73_48
.LBB73_64:                              ;   in Loop: Header=BB73_3 Depth=1
	s_waitcnt vmcnt(0)
	v_cmp_u_f64_e64 s[14:15], v[9:10], v[9:10]
	v_cmp_eq_f64_e64 s[12:13], s[52:53], v[9:10]
	v_addc_co_u32_e64 v66, s[14:15], 0, v66, s[14:15]
	v_cmp_gt_f64_e64 s[14:15], s[52:53], v[9:10]
	v_addc_co_u32_e64 v67, s[14:15], 0, v67, s[14:15]
	v_cmp_gt_i32_e64 s[14:15], s8, v40
	s_and_b64 s[12:13], s[14:15], s[12:13]
	v_addc_co_u32_e64 v68, s[12:13], 0, v68, s[12:13]
	s_or_b64 exec, exec, s[16:17]
	s_and_saveexec_b64 s[14:15], s[10:11]
	s_cbranch_execz .LBB73_49
.LBB73_65:                              ;   in Loop: Header=BB73_3 Depth=1
	s_waitcnt vmcnt(0)
	v_cmp_u_f64_e64 s[12:13], v[3:4], v[3:4]
	v_cmp_eq_f64_e64 s[10:11], s[52:53], v[3:4]
	v_addc_co_u32_e64 v66, s[12:13], 0, v66, s[12:13]
	v_cmp_gt_f64_e64 s[12:13], s[52:53], v[3:4]
	v_addc_co_u32_e64 v67, s[12:13], 0, v67, s[12:13]
	v_cmp_gt_i32_e64 s[12:13], s8, v38
	s_and_b64 s[10:11], s[12:13], s[10:11]
	v_addc_co_u32_e64 v68, s[10:11], 0, v68, s[10:11]
	s_or_b64 exec, exec, s[14:15]
	s_and_saveexec_b64 s[12:13], vcc
	s_cbranch_execz .LBB73_2
.LBB73_66:                              ;   in Loop: Header=BB73_3 Depth=1
	s_waitcnt vmcnt(0)
	v_cmp_u_f64_e64 s[10:11], v[5:6], v[5:6]
	v_cmp_eq_f64_e32 vcc, s[52:53], v[5:6]
	v_addc_co_u32_e64 v66, s[10:11], 0, v66, s[10:11]
	v_cmp_gt_f64_e64 s[10:11], s[52:53], v[5:6]
	v_addc_co_u32_e64 v67, s[10:11], 0, v67, s[10:11]
	v_cmp_gt_i32_e64 s[10:11], s8, v36
	s_and_b64 vcc, s[10:11], vcc
	v_addc_co_u32_e32 v68, vcc, 0, v68, vcc
	s_branch .LBB73_2
.LBB73_67:
	s_mov_b64 s[10:11], -1
	v_mov_b32_e32 v35, 0
                                        ; implicit-def: $vgpr15_vgpr16
                                        ; implicit-def: $vgpr19_vgpr20
                                        ; implicit-def: $vgpr23_vgpr24
                                        ; implicit-def: $vgpr27_vgpr28
                                        ; implicit-def: $vgpr31_vgpr32
                                        ; implicit-def: $vgpr11_vgpr12
                                        ; implicit-def: $vgpr7_vgpr8
                                        ; implicit-def: $vgpr3_vgpr4
	v_lshlrev_b32_e32 v36, 2, v0
	s_cmp_lt_u32 s58, 2
	ds_write_b32 v36, v35
	s_cbranch_scc0 .LBB73_69
	s_branch .LBB73_73
.LBB73_68:
	v_add_u32_e32 v35, v67, v68
	v_cmp_eq_u32_e64 s[10:11], 0, v66
	v_lshlrev_b32_e32 v36, 2, v0
	s_cmp_lt_u32 s58, 2
	ds_write_b32 v36, v35
	s_cbranch_scc1 .LBB73_73
.LBB73_69:
	s_mov_b32 s14, s58
	s_branch .LBB73_71
.LBB73_70:                              ;   in Loop: Header=BB73_71 Depth=1
	s_or_b64 exec, exec, s[12:13]
	s_cmp_lt_u32 s14, 4
	s_mov_b32 s14, s15
	s_cbranch_scc1 .LBB73_73
.LBB73_71:                              ; =>This Inner Loop Header: Depth=1
	s_lshr_b32 s15, s14, 1
	v_cmp_gt_u32_e32 vcc, s15, v0
	s_waitcnt vmcnt(0) lgkmcnt(0)
	s_barrier
	s_and_saveexec_b64 s[12:13], vcc
	s_cbranch_execz .LBB73_70
; %bb.72:                               ;   in Loop: Header=BB73_71 Depth=1
	v_lshl_add_u32 v37, s15, 2, v36
	ds_read_b32 v37, v37
	s_waitcnt lgkmcnt(0)
	v_add_u32_e32 v35, v37, v35
	ds_write_b32 v36, v35
	s_branch .LBB73_70
.LBB73_73:
	v_mov_b32_e32 v35, 0
	s_xor_b64 s[12:13], s[10:11], -1
	s_mul_i32 s10, s46, s72
	s_mul_hi_u32 s11, s46, s33
	s_waitcnt vmcnt(0) lgkmcnt(0)
	s_barrier
	ds_read_b32 v36, v35
	s_add_i32 s10, s11, s10
	s_mul_i32 s11, s47, s33
	s_add_i32 s11, s10, s11
	s_mul_i32 s10, s46, s33
	s_lshl_b64 s[10:11], s[10:11], 3
	s_add_u32 s16, s44, s10
	s_addc_u32 s17, s45, s11
	s_waitcnt lgkmcnt(0)
	v_readfirstlane_b32 s10, v36
	v_cmp_eq_u32_e32 vcc, 0, v0
	s_and_saveexec_b64 s[14:15], vcc
	s_cbranch_execnz .LBB73_76
; %bb.74:
	s_or_b64 exec, exec, s[14:15]
	s_and_saveexec_b64 s[14:15], s[12:13]
	s_cbranch_execnz .LBB73_77
.LBB73_75:
	s_or_b64 exec, exec, s[14:15]
	s_andn2_b64 vcc, exec, s[54:55]
	s_cbranch_vccz .LBB73_78
	s_branch .LBB73_144
.LBB73_76:
	s_ashr_i32 s11, s10, 31
	s_lshl_b64 s[18:19], s[10:11], 3
	s_add_u32 s18, s16, s18
	v_mov_b32_e32 v36, s52
	s_addc_u32 s19, s17, s19
	v_mov_b32_e32 v37, s53
	global_store_dwordx2 v35, v[36:37], s[18:19]
	s_or_b64 exec, exec, s[14:15]
	s_and_saveexec_b64 s[14:15], s[12:13]
	s_cbranch_execz .LBB73_75
.LBB73_77:
	s_add_u32 s12, s16, s50
	s_addc_u32 s13, s17, s51
	v_mov_b32_e32 v35, 0
	v_mov_b32_e32 v36, 0x7ff80000
	global_store_dwordx2 v35, v[35:36], s[12:13]
	s_or_b64 exec, exec, s[14:15]
	s_andn2_b64 vcc, exec, s[54:55]
	s_cbranch_vccnz .LBB73_144
.LBB73_78:
	s_load_dwordx2 s[20:21], s[6:7], 0x30
	s_load_dwordx8 s[12:19], s[6:7], 0x38
	s_waitcnt lgkmcnt(0)
	s_ashr_i32 s7, s20, 31
	s_mov_b32 s6, s20
	s_mul_i32 s11, s12, s72
	s_mul_hi_u32 s20, s12, s33
	s_add_i32 s11, s20, s11
	s_mul_i32 s13, s13, s33
	s_add_i32 s13, s11, s13
	s_mul_i32 s12, s12, s33
	s_lshl_b64 s[12:13], s[12:13], 4
	s_add_u32 s11, s48, s12
	s_addc_u32 s12, s49, s13
	s_lshl_b64 s[6:7], s[6:7], 4
	s_add_u32 s11, s11, s6
	s_addc_u32 s20, s12, s7
	s_mul_i32 s12, s18, s72
	s_mul_hi_u32 s13, s18, s33
	s_add_i32 s12, s13, s12
	s_mul_i32 s13, s19, s33
	s_add_i32 s13, s12, s13
	s_mul_i32 s12, s18, s33
	s_ashr_i32 s7, s16, 31
	s_lshl_b64 s[12:13], s[12:13], 4
	s_mov_b32 s6, s16
	s_add_u32 s12, s14, s12
	s_addc_u32 s13, s15, s13
	s_lshl_b64 s[6:7], s[6:7], 4
	s_add_u32 s12, s12, s6
	s_mul_i32 s6, s21, s8
	s_addc_u32 s13, s13, s7
	s_ashr_i32 s7, s6, 31
	s_lshl_b64 s[6:7], s[6:7], 4
	s_add_u32 s33, s11, s6
	s_mul_i32 s6, s10, s17
	s_load_dwordx2 s[10:11], s[4:5], 0x4
	s_addc_u32 s40, s20, s7
	s_ashr_i32 s7, s6, 31
	s_lshl_b64 s[4:5], s[6:7], 4
	s_add_u32 s41, s12, s4
	s_addc_u32 s42, s13, s5
	s_waitcnt lgkmcnt(0)
	s_lshr_b32 s4, s10, 16
	s_mul_i32 s4, s4, s11
	v_mul_lo_u32 v35, s4, v0
	v_mul_u32_u24_e32 v1, s11, v1
	s_add_i32 s43, s9, 1
	s_lshl_b32 s44, s58, 1
	v_add3_u32 v1, v35, v1, v2
	v_mov_b32_e32 v2, 0x800
	v_lshl_add_u32 v2, v1, 4, v2
	s_lshl_b32 s45, s58, 2
	s_lshl_b32 s46, s58, 3
	s_branch .LBB73_80
.LBB73_79:                              ;   in Loop: Header=BB73_80 Depth=1
	s_or_b64 exec, exec, s[4:5]
	s_add_i32 s43, s43, -1
	s_cmp_eq_u32 s43, 0
	v_add_u32_e32 v0, s59, v0
	s_cbranch_scc1 .LBB73_144
.LBB73_80:                              ; =>This Inner Loop Header: Depth=1
	v_cmp_gt_i32_e32 vcc, s60, v0
	v_ashrrev_i32_e32 v1, 31, v0
	s_and_saveexec_b64 s[6:7], vcc
	s_cbranch_execz .LBB73_82
; %bb.81:                               ;   in Loop: Header=BB73_80 Depth=1
	s_waitcnt vmcnt(0)
	v_lshlrev_b64 v[15:16], 4, v[0:1]
	v_mov_b32_e32 v17, s40
	v_add_co_u32_e64 v15, s[4:5], s33, v15
	v_addc_co_u32_e64 v16, s[4:5], v17, v16, s[4:5]
	global_load_dwordx4 v[15:18], v[15:16], off
.LBB73_82:                              ;   in Loop: Header=BB73_80 Depth=1
	s_or_b64 exec, exec, s[6:7]
	v_add_u32_e32 v35, s58, v0
	v_cmp_gt_i32_e64 s[4:5], s60, v35
	v_ashrrev_i32_e32 v36, 31, v35
	s_and_saveexec_b64 s[8:9], s[4:5]
	s_cbranch_execz .LBB73_84
; %bb.83:                               ;   in Loop: Header=BB73_80 Depth=1
	s_waitcnt vmcnt(0)
	v_lshlrev_b64 v[19:20], 4, v[35:36]
	v_mov_b32_e32 v21, s40
	v_add_co_u32_e64 v19, s[6:7], s33, v19
	v_addc_co_u32_e64 v20, s[6:7], v21, v20, s[6:7]
	global_load_dwordx4 v[19:22], v[19:20], off
.LBB73_84:                              ;   in Loop: Header=BB73_80 Depth=1
	s_or_b64 exec, exec, s[8:9]
	v_add_u32_e32 v37, s44, v0
	v_add_u32_e32 v40, s58, v35
	v_cmp_gt_i32_e64 s[6:7], s60, v40
	v_ashrrev_i32_e32 v38, 31, v37
	s_and_saveexec_b64 s[10:11], s[6:7]
	s_cbranch_execz .LBB73_86
; %bb.85:                               ;   in Loop: Header=BB73_80 Depth=1
	s_waitcnt vmcnt(0)
	v_lshlrev_b64 v[23:24], 4, v[37:38]
	v_mov_b32_e32 v25, s40
	v_add_co_u32_e64 v23, s[8:9], s33, v23
	v_addc_co_u32_e64 v24, s[8:9], v25, v24, s[8:9]
	global_load_dwordx4 v[23:26], v[23:24], off
.LBB73_86:                              ;   in Loop: Header=BB73_80 Depth=1
	s_or_b64 exec, exec, s[10:11]
	v_add_u32_e32 v39, s61, v0
	;; [unrolled: 15-line block ×7, first 2 shown]
	v_add_u32_e32 v45, s58, v45
	v_cmp_gt_i32_e64 s[28:29], s60, v45
	v_ashrrev_i32_e32 v64, 31, v63
	s_and_saveexec_b64 s[20:21], s[28:29]
	s_cbranch_execz .LBB73_98
; %bb.97:                               ;   in Loop: Header=BB73_80 Depth=1
	v_lshlrev_b64 v[49:50], 4, v[63:64]
	v_mov_b32_e32 v46, s40
	v_add_co_u32_e64 v49, s[16:17], s33, v49
	v_addc_co_u32_e64 v50, s[16:17], v46, v50, s[16:17]
	global_load_dwordx4 v[49:52], v[49:50], off
	s_waitcnt vmcnt(0)
	ds_write2_b64 v2, v[49:50], v[51:52] offset1:1
.LBB73_98:                              ;   in Loop: Header=BB73_80 Depth=1
	s_or_b64 exec, exec, s[20:21]
	v_add_u32_e32 v61, s65, v0
	v_add_u32_e32 v45, s58, v45
	v_cmp_gt_i32_e64 s[34:35], s60, v45
	v_ashrrev_i32_e32 v62, 31, v61
	s_and_saveexec_b64 s[20:21], s[34:35]
	s_cbranch_execz .LBB73_100
; %bb.99:                               ;   in Loop: Header=BB73_80 Depth=1
	v_lshlrev_b64 v[49:50], 4, v[61:62]
	v_mov_b32_e32 v46, s40
	v_add_co_u32_e64 v49, s[16:17], s33, v49
	v_addc_co_u32_e64 v50, s[16:17], v46, v50, s[16:17]
	global_load_dwordx4 v[49:52], v[49:50], off
	s_waitcnt vmcnt(0)
	buffer_store_dword v52, off, s[0:3], 0 offset:12
	buffer_store_dword v51, off, s[0:3], 0 offset:8
	;; [unrolled: 1-line block ×3, first 2 shown]
	buffer_store_dword v49, off, s[0:3], 0
.LBB73_100:                             ;   in Loop: Header=BB73_80 Depth=1
	s_or_b64 exec, exec, s[20:21]
	v_add_u32_e32 v59, s66, v0
	v_add_u32_e32 v45, s58, v45
	v_cmp_gt_i32_e64 s[30:31], s60, v45
	v_ashrrev_i32_e32 v60, 31, v59
	s_and_saveexec_b64 s[20:21], s[30:31]
	s_cbranch_execz .LBB73_102
; %bb.101:                              ;   in Loop: Header=BB73_80 Depth=1
	v_lshlrev_b64 v[49:50], 4, v[59:60]
	v_mov_b32_e32 v46, s40
	v_add_co_u32_e64 v49, s[16:17], s33, v49
	v_addc_co_u32_e64 v50, s[16:17], v46, v50, s[16:17]
	global_load_dwordx4 v[49:52], v[49:50], off
	s_waitcnt vmcnt(0)
	buffer_store_dword v52, off, s[0:3], 0 offset:28
	buffer_store_dword v51, off, s[0:3], 0 offset:24
	buffer_store_dword v50, off, s[0:3], 0 offset:20
	buffer_store_dword v49, off, s[0:3], 0 offset:16
.LBB73_102:                             ;   in Loop: Header=BB73_80 Depth=1
	s_or_b64 exec, exec, s[20:21]
	v_add_u32_e32 v55, s67, v0
	v_add_u32_e32 v45, s58, v45
	v_cmp_gt_i32_e64 s[26:27], s60, v45
	v_ashrrev_i32_e32 v56, 31, v55
	s_and_saveexec_b64 s[20:21], s[26:27]
	s_cbranch_execz .LBB73_104
; %bb.103:                              ;   in Loop: Header=BB73_80 Depth=1
	v_lshlrev_b64 v[49:50], 4, v[55:56]
	v_mov_b32_e32 v46, s40
	v_add_co_u32_e64 v49, s[16:17], s33, v49
	v_addc_co_u32_e64 v50, s[16:17], v46, v50, s[16:17]
	global_load_dwordx4 v[49:52], v[49:50], off
	s_waitcnt vmcnt(0)
	buffer_store_dword v52, off, s[0:3], 0 offset:44
	buffer_store_dword v51, off, s[0:3], 0 offset:40
	buffer_store_dword v50, off, s[0:3], 0 offset:36
	buffer_store_dword v49, off, s[0:3], 0 offset:32
.LBB73_104:                             ;   in Loop: Header=BB73_80 Depth=1
	;; [unrolled: 19-line block ×5, first 2 shown]
	s_or_b64 exec, exec, s[36:37]
	v_add_u32_e32 v45, s71, v0
	v_add_u32_e32 v46, s58, v46
	v_cmp_gt_i32_e64 s[16:17], s60, v46
	v_ashrrev_i32_e32 v46, 31, v45
	s_and_saveexec_b64 s[38:39], s[16:17]
	s_cbranch_execnz .LBB73_127
; %bb.111:                              ;   in Loop: Header=BB73_80 Depth=1
	s_or_b64 exec, exec, s[38:39]
	s_and_saveexec_b64 s[36:37], vcc
	s_cbranch_execnz .LBB73_128
.LBB73_112:                             ;   in Loop: Header=BB73_80 Depth=1
	s_or_b64 exec, exec, s[36:37]
	s_and_saveexec_b64 s[36:37], s[4:5]
	s_cbranch_execnz .LBB73_129
.LBB73_113:                             ;   in Loop: Header=BB73_80 Depth=1
	s_or_b64 exec, exec, s[36:37]
	s_and_saveexec_b64 s[4:5], s[6:7]
	s_cbranch_execnz .LBB73_130
.LBB73_114:                             ;   in Loop: Header=BB73_80 Depth=1
	s_or_b64 exec, exec, s[4:5]
	s_and_saveexec_b64 s[4:5], s[8:9]
	s_cbranch_execnz .LBB73_131
.LBB73_115:                             ;   in Loop: Header=BB73_80 Depth=1
	s_or_b64 exec, exec, s[4:5]
	s_and_saveexec_b64 s[4:5], s[10:11]
	s_cbranch_execnz .LBB73_132
.LBB73_116:                             ;   in Loop: Header=BB73_80 Depth=1
	s_or_b64 exec, exec, s[4:5]
	s_and_saveexec_b64 s[4:5], s[12:13]
	s_cbranch_execnz .LBB73_133
.LBB73_117:                             ;   in Loop: Header=BB73_80 Depth=1
	s_or_b64 exec, exec, s[4:5]
	s_and_saveexec_b64 s[4:5], s[14:15]
	s_cbranch_execnz .LBB73_134
.LBB73_118:                             ;   in Loop: Header=BB73_80 Depth=1
	s_or_b64 exec, exec, s[4:5]
	s_and_saveexec_b64 s[4:5], s[18:19]
	s_cbranch_execnz .LBB73_135
.LBB73_119:                             ;   in Loop: Header=BB73_80 Depth=1
	s_or_b64 exec, exec, s[4:5]
	s_and_saveexec_b64 s[4:5], s[28:29]
	s_cbranch_execnz .LBB73_136
.LBB73_120:                             ;   in Loop: Header=BB73_80 Depth=1
	s_or_b64 exec, exec, s[4:5]
	s_and_saveexec_b64 s[4:5], s[34:35]
	s_cbranch_execnz .LBB73_137
.LBB73_121:                             ;   in Loop: Header=BB73_80 Depth=1
	s_or_b64 exec, exec, s[4:5]
	s_and_saveexec_b64 s[4:5], s[30:31]
	s_cbranch_execnz .LBB73_138
.LBB73_122:                             ;   in Loop: Header=BB73_80 Depth=1
	s_or_b64 exec, exec, s[4:5]
	s_and_saveexec_b64 s[4:5], s[26:27]
	s_cbranch_execnz .LBB73_139
.LBB73_123:                             ;   in Loop: Header=BB73_80 Depth=1
	s_or_b64 exec, exec, s[4:5]
	s_and_saveexec_b64 s[4:5], s[24:25]
	s_cbranch_execnz .LBB73_140
.LBB73_124:                             ;   in Loop: Header=BB73_80 Depth=1
	s_or_b64 exec, exec, s[4:5]
	s_and_saveexec_b64 s[4:5], s[22:23]
	s_cbranch_execnz .LBB73_141
.LBB73_125:                             ;   in Loop: Header=BB73_80 Depth=1
	s_or_b64 exec, exec, s[4:5]
	s_and_saveexec_b64 s[4:5], s[20:21]
	s_cbranch_execnz .LBB73_142
.LBB73_126:                             ;   in Loop: Header=BB73_80 Depth=1
	s_or_b64 exec, exec, s[4:5]
	s_and_saveexec_b64 s[4:5], s[16:17]
	s_cbranch_execz .LBB73_79
	s_branch .LBB73_143
.LBB73_127:                             ;   in Loop: Header=BB73_80 Depth=1
	v_lshlrev_b64 v[65:66], 4, v[45:46]
	v_mov_b32_e32 v67, s40
	v_add_co_u32_e64 v65, s[36:37], s33, v65
	v_addc_co_u32_e64 v66, s[36:37], v67, v66, s[36:37]
	global_load_dwordx4 v[65:68], v[65:66], off
	s_waitcnt vmcnt(0)
	buffer_store_dword v68, off, s[0:3], 0 offset:108
	buffer_store_dword v67, off, s[0:3], 0 offset:104
	;; [unrolled: 1-line block ×4, first 2 shown]
	s_or_b64 exec, exec, s[38:39]
	s_and_saveexec_b64 s[36:37], vcc
	s_cbranch_execz .LBB73_112
.LBB73_128:                             ;   in Loop: Header=BB73_80 Depth=1
	v_lshlrev_b64 v[65:66], 4, v[0:1]
	v_mov_b32_e32 v1, s42
	v_add_co_u32_e32 v65, vcc, s41, v65
	v_addc_co_u32_e32 v66, vcc, v1, v66, vcc
	s_waitcnt vmcnt(0)
	global_store_dwordx4 v[65:66], v[15:18], off
	s_or_b64 exec, exec, s[36:37]
	s_and_saveexec_b64 s[36:37], s[4:5]
	s_cbranch_execz .LBB73_113
.LBB73_129:                             ;   in Loop: Header=BB73_80 Depth=1
	v_lshlrev_b64 v[35:36], 4, v[35:36]
	v_mov_b32_e32 v1, s42
	v_add_co_u32_e32 v35, vcc, s41, v35
	v_addc_co_u32_e32 v36, vcc, v1, v36, vcc
	s_waitcnt vmcnt(0)
	global_store_dwordx4 v[35:36], v[19:22], off
	s_or_b64 exec, exec, s[36:37]
	s_and_saveexec_b64 s[4:5], s[6:7]
	s_cbranch_execz .LBB73_114
.LBB73_130:                             ;   in Loop: Header=BB73_80 Depth=1
	v_lshlrev_b64 v[35:36], 4, v[37:38]
	v_mov_b32_e32 v1, s42
	v_add_co_u32_e32 v35, vcc, s41, v35
	v_addc_co_u32_e32 v36, vcc, v1, v36, vcc
	s_waitcnt vmcnt(0)
	global_store_dwordx4 v[35:36], v[23:26], off
	s_or_b64 exec, exec, s[4:5]
	s_and_saveexec_b64 s[4:5], s[8:9]
	s_cbranch_execz .LBB73_115
.LBB73_131:                             ;   in Loop: Header=BB73_80 Depth=1
	v_lshlrev_b64 v[35:36], 4, v[39:40]
	v_mov_b32_e32 v1, s42
	v_add_co_u32_e32 v35, vcc, s41, v35
	v_addc_co_u32_e32 v36, vcc, v1, v36, vcc
	s_waitcnt vmcnt(0)
	global_store_dwordx4 v[35:36], v[27:30], off
	s_or_b64 exec, exec, s[4:5]
	s_and_saveexec_b64 s[4:5], s[10:11]
	s_cbranch_execz .LBB73_116
.LBB73_132:                             ;   in Loop: Header=BB73_80 Depth=1
	v_lshlrev_b64 v[35:36], 4, v[41:42]
	v_mov_b32_e32 v1, s42
	v_add_co_u32_e32 v35, vcc, s41, v35
	v_addc_co_u32_e32 v36, vcc, v1, v36, vcc
	s_waitcnt vmcnt(0)
	global_store_dwordx4 v[35:36], v[31:34], off
	s_or_b64 exec, exec, s[4:5]
	s_and_saveexec_b64 s[4:5], s[12:13]
	s_cbranch_execz .LBB73_117
.LBB73_133:                             ;   in Loop: Header=BB73_80 Depth=1
	v_lshlrev_b64 v[35:36], 4, v[43:44]
	v_mov_b32_e32 v1, s42
	v_add_co_u32_e32 v35, vcc, s41, v35
	v_addc_co_u32_e32 v36, vcc, v1, v36, vcc
	s_waitcnt vmcnt(0)
	global_store_dwordx4 v[35:36], v[11:14], off
	s_or_b64 exec, exec, s[4:5]
	s_and_saveexec_b64 s[4:5], s[14:15]
	s_cbranch_execz .LBB73_118
.LBB73_134:                             ;   in Loop: Header=BB73_80 Depth=1
	v_lshlrev_b64 v[35:36], 4, v[47:48]
	v_mov_b32_e32 v1, s42
	v_add_co_u32_e32 v35, vcc, s41, v35
	v_addc_co_u32_e32 v36, vcc, v1, v36, vcc
	s_waitcnt vmcnt(0)
	global_store_dwordx4 v[35:36], v[7:10], off
	s_or_b64 exec, exec, s[4:5]
	s_and_saveexec_b64 s[4:5], s[18:19]
	s_cbranch_execz .LBB73_119
.LBB73_135:                             ;   in Loop: Header=BB73_80 Depth=1
	v_lshlrev_b64 v[35:36], 4, v[57:58]
	v_mov_b32_e32 v1, s42
	v_add_co_u32_e32 v35, vcc, s41, v35
	v_addc_co_u32_e32 v36, vcc, v1, v36, vcc
	s_waitcnt vmcnt(0)
	global_store_dwordx4 v[35:36], v[3:6], off
	s_or_b64 exec, exec, s[4:5]
	s_and_saveexec_b64 s[4:5], s[28:29]
	s_cbranch_execz .LBB73_120
.LBB73_136:                             ;   in Loop: Header=BB73_80 Depth=1
	ds_read2_b64 v[35:38], v2 offset1:1
	v_lshlrev_b64 v[39:40], 4, v[63:64]
	v_mov_b32_e32 v1, s42
	v_add_co_u32_e32 v39, vcc, s41, v39
	v_addc_co_u32_e32 v40, vcc, v1, v40, vcc
	s_waitcnt lgkmcnt(0)
	global_store_dwordx4 v[39:40], v[35:38], off
	s_or_b64 exec, exec, s[4:5]
	s_and_saveexec_b64 s[4:5], s[34:35]
	s_cbranch_execz .LBB73_121
.LBB73_137:                             ;   in Loop: Header=BB73_80 Depth=1
	buffer_load_dword v35, off, s[0:3], 0
	buffer_load_dword v36, off, s[0:3], 0 offset:4
	buffer_load_dword v37, off, s[0:3], 0 offset:8
	;; [unrolled: 1-line block ×3, first 2 shown]
	v_lshlrev_b64 v[39:40], 4, v[61:62]
	v_mov_b32_e32 v1, s42
	v_add_co_u32_e32 v39, vcc, s41, v39
	v_addc_co_u32_e32 v40, vcc, v1, v40, vcc
	s_waitcnt vmcnt(0)
	global_store_dwordx4 v[39:40], v[35:38], off
	s_or_b64 exec, exec, s[4:5]
	s_and_saveexec_b64 s[4:5], s[30:31]
	s_cbranch_execz .LBB73_122
.LBB73_138:                             ;   in Loop: Header=BB73_80 Depth=1
	buffer_load_dword v35, off, s[0:3], 0 offset:16
	buffer_load_dword v36, off, s[0:3], 0 offset:20
	buffer_load_dword v37, off, s[0:3], 0 offset:24
	buffer_load_dword v38, off, s[0:3], 0 offset:28
	v_lshlrev_b64 v[39:40], 4, v[59:60]
	v_mov_b32_e32 v1, s42
	v_add_co_u32_e32 v39, vcc, s41, v39
	v_addc_co_u32_e32 v40, vcc, v1, v40, vcc
	s_waitcnt vmcnt(0)
	global_store_dwordx4 v[39:40], v[35:38], off
	s_or_b64 exec, exec, s[4:5]
	s_and_saveexec_b64 s[4:5], s[26:27]
	s_cbranch_execz .LBB73_123
.LBB73_139:                             ;   in Loop: Header=BB73_80 Depth=1
	buffer_load_dword v35, off, s[0:3], 0 offset:32
	buffer_load_dword v36, off, s[0:3], 0 offset:36
	;; [unrolled: 1-line block ×4, first 2 shown]
	v_lshlrev_b64 v[39:40], 4, v[55:56]
	v_mov_b32_e32 v1, s42
	v_add_co_u32_e32 v39, vcc, s41, v39
	v_addc_co_u32_e32 v40, vcc, v1, v40, vcc
	s_waitcnt vmcnt(0)
	global_store_dwordx4 v[39:40], v[35:38], off
	s_or_b64 exec, exec, s[4:5]
	s_and_saveexec_b64 s[4:5], s[24:25]
	s_cbranch_execz .LBB73_124
.LBB73_140:                             ;   in Loop: Header=BB73_80 Depth=1
	buffer_load_dword v35, off, s[0:3], 0 offset:48
	buffer_load_dword v36, off, s[0:3], 0 offset:52
	buffer_load_dword v37, off, s[0:3], 0 offset:56
	buffer_load_dword v38, off, s[0:3], 0 offset:60
	v_lshlrev_b64 v[39:40], 4, v[53:54]
	v_mov_b32_e32 v1, s42
	v_add_co_u32_e32 v39, vcc, s41, v39
	v_addc_co_u32_e32 v40, vcc, v1, v40, vcc
	s_waitcnt vmcnt(0)
	global_store_dwordx4 v[39:40], v[35:38], off
	s_or_b64 exec, exec, s[4:5]
	s_and_saveexec_b64 s[4:5], s[22:23]
	s_cbranch_execz .LBB73_125
.LBB73_141:                             ;   in Loop: Header=BB73_80 Depth=1
	buffer_load_dword v35, off, s[0:3], 0 offset:64
	buffer_load_dword v36, off, s[0:3], 0 offset:68
	;; [unrolled: 1-line block ×4, first 2 shown]
	v_lshlrev_b64 v[39:40], 4, v[51:52]
	v_mov_b32_e32 v1, s42
	v_add_co_u32_e32 v39, vcc, s41, v39
	v_addc_co_u32_e32 v40, vcc, v1, v40, vcc
	s_waitcnt vmcnt(0)
	global_store_dwordx4 v[39:40], v[35:38], off
	s_or_b64 exec, exec, s[4:5]
	s_and_saveexec_b64 s[4:5], s[20:21]
	s_cbranch_execz .LBB73_126
.LBB73_142:                             ;   in Loop: Header=BB73_80 Depth=1
	buffer_load_dword v35, off, s[0:3], 0 offset:80
	buffer_load_dword v36, off, s[0:3], 0 offset:84
	;; [unrolled: 1-line block ×4, first 2 shown]
	v_lshlrev_b64 v[39:40], 4, v[49:50]
	v_mov_b32_e32 v1, s42
	v_add_co_u32_e32 v39, vcc, s41, v39
	v_addc_co_u32_e32 v40, vcc, v1, v40, vcc
	s_waitcnt vmcnt(0)
	global_store_dwordx4 v[39:40], v[35:38], off
	s_or_b64 exec, exec, s[4:5]
	s_and_saveexec_b64 s[4:5], s[16:17]
	s_cbranch_execz .LBB73_79
.LBB73_143:                             ;   in Loop: Header=BB73_80 Depth=1
	buffer_load_dword v35, off, s[0:3], 0 offset:96
	buffer_load_dword v36, off, s[0:3], 0 offset:100
	;; [unrolled: 1-line block ×4, first 2 shown]
	v_lshlrev_b64 v[39:40], 4, v[45:46]
	v_mov_b32_e32 v1, s42
	v_add_co_u32_e32 v39, vcc, s41, v39
	v_addc_co_u32_e32 v40, vcc, v1, v40, vcc
	s_waitcnt vmcnt(0)
	global_store_dwordx4 v[39:40], v[35:38], off
	s_branch .LBB73_79
.LBB73_144:
	s_endpgm
	.section	.rodata,"a",@progbits
	.p2align	6, 0x0
	.amdhsa_kernel _ZN9rocsolver6v33100L10stedc_sortI19rocblas_complex_numIdEdPS3_S4_EEviPT0_lS6_lT1_iilT2_iil
		.amdhsa_group_segment_fixed_size 10240
		.amdhsa_private_segment_fixed_size 128
		.amdhsa_kernarg_size 344
		.amdhsa_user_sgpr_count 8
		.amdhsa_user_sgpr_private_segment_buffer 1
		.amdhsa_user_sgpr_dispatch_ptr 1
		.amdhsa_user_sgpr_queue_ptr 0
		.amdhsa_user_sgpr_kernarg_segment_ptr 1
		.amdhsa_user_sgpr_dispatch_id 0
		.amdhsa_user_sgpr_flat_scratch_init 0
		.amdhsa_user_sgpr_private_segment_size 0
		.amdhsa_uses_dynamic_stack 0
		.amdhsa_system_sgpr_private_segment_wavefront_offset 1
		.amdhsa_system_sgpr_workgroup_id_x 1
		.amdhsa_system_sgpr_workgroup_id_y 1
		.amdhsa_system_sgpr_workgroup_id_z 0
		.amdhsa_system_sgpr_workgroup_info 0
		.amdhsa_system_vgpr_workitem_id 2
		.amdhsa_next_free_vgpr 69
		.amdhsa_next_free_sgpr 79
		.amdhsa_reserve_vcc 1
		.amdhsa_reserve_flat_scratch 0
		.amdhsa_float_round_mode_32 0
		.amdhsa_float_round_mode_16_64 0
		.amdhsa_float_denorm_mode_32 3
		.amdhsa_float_denorm_mode_16_64 3
		.amdhsa_dx10_clamp 1
		.amdhsa_ieee_mode 1
		.amdhsa_fp16_overflow 0
		.amdhsa_exception_fp_ieee_invalid_op 0
		.amdhsa_exception_fp_denorm_src 0
		.amdhsa_exception_fp_ieee_div_zero 0
		.amdhsa_exception_fp_ieee_overflow 0
		.amdhsa_exception_fp_ieee_underflow 0
		.amdhsa_exception_fp_ieee_inexact 0
		.amdhsa_exception_int_div_zero 0
	.end_amdhsa_kernel
	.section	.text._ZN9rocsolver6v33100L10stedc_sortI19rocblas_complex_numIdEdPS3_S4_EEviPT0_lS6_lT1_iilT2_iil,"axG",@progbits,_ZN9rocsolver6v33100L10stedc_sortI19rocblas_complex_numIdEdPS3_S4_EEviPT0_lS6_lT1_iilT2_iil,comdat
.Lfunc_end73:
	.size	_ZN9rocsolver6v33100L10stedc_sortI19rocblas_complex_numIdEdPS3_S4_EEviPT0_lS6_lT1_iilT2_iil, .Lfunc_end73-_ZN9rocsolver6v33100L10stedc_sortI19rocblas_complex_numIdEdPS3_S4_EEviPT0_lS6_lT1_iilT2_iil
                                        ; -- End function
	.set _ZN9rocsolver6v33100L10stedc_sortI19rocblas_complex_numIdEdPS3_S4_EEviPT0_lS6_lT1_iilT2_iil.num_vgpr, 69
	.set _ZN9rocsolver6v33100L10stedc_sortI19rocblas_complex_numIdEdPS3_S4_EEviPT0_lS6_lT1_iilT2_iil.num_agpr, 0
	.set _ZN9rocsolver6v33100L10stedc_sortI19rocblas_complex_numIdEdPS3_S4_EEviPT0_lS6_lT1_iilT2_iil.numbered_sgpr, 79
	.set _ZN9rocsolver6v33100L10stedc_sortI19rocblas_complex_numIdEdPS3_S4_EEviPT0_lS6_lT1_iilT2_iil.num_named_barrier, 0
	.set _ZN9rocsolver6v33100L10stedc_sortI19rocblas_complex_numIdEdPS3_S4_EEviPT0_lS6_lT1_iilT2_iil.private_seg_size, 128
	.set _ZN9rocsolver6v33100L10stedc_sortI19rocblas_complex_numIdEdPS3_S4_EEviPT0_lS6_lT1_iilT2_iil.uses_vcc, 1
	.set _ZN9rocsolver6v33100L10stedc_sortI19rocblas_complex_numIdEdPS3_S4_EEviPT0_lS6_lT1_iilT2_iil.uses_flat_scratch, 0
	.set _ZN9rocsolver6v33100L10stedc_sortI19rocblas_complex_numIdEdPS3_S4_EEviPT0_lS6_lT1_iilT2_iil.has_dyn_sized_stack, 0
	.set _ZN9rocsolver6v33100L10stedc_sortI19rocblas_complex_numIdEdPS3_S4_EEviPT0_lS6_lT1_iilT2_iil.has_recursion, 0
	.set _ZN9rocsolver6v33100L10stedc_sortI19rocblas_complex_numIdEdPS3_S4_EEviPT0_lS6_lT1_iilT2_iil.has_indirect_call, 0
	.section	.AMDGPU.csdata,"",@progbits
; Kernel info:
; codeLenInByte = 5828
; TotalNumSgprs: 83
; NumVgprs: 69
; ScratchSize: 128
; MemoryBound: 1
; FloatMode: 240
; IeeeMode: 1
; LDSByteSize: 10240 bytes/workgroup (compile time only)
; SGPRBlocks: 10
; VGPRBlocks: 17
; NumSGPRsForWavesPerEU: 83
; NumVGPRsForWavesPerEU: 69
; Occupancy: 3
; WaveLimiterHint : 0
; COMPUTE_PGM_RSRC2:SCRATCH_EN: 1
; COMPUTE_PGM_RSRC2:USER_SGPR: 8
; COMPUTE_PGM_RSRC2:TRAP_HANDLER: 0
; COMPUTE_PGM_RSRC2:TGID_X_EN: 1
; COMPUTE_PGM_RSRC2:TGID_Y_EN: 1
; COMPUTE_PGM_RSRC2:TGID_Z_EN: 0
; COMPUTE_PGM_RSRC2:TIDIG_COMP_CNT: 2
	.section	.AMDGPU.gpr_maximums,"",@progbits
	.set amdgpu.max_num_vgpr, 64
	.set amdgpu.max_num_agpr, 0
	.set amdgpu.max_num_sgpr, 78
	.section	.AMDGPU.csdata,"",@progbits
	.type	__hip_cuid_222ce440252871f3,@object ; @__hip_cuid_222ce440252871f3
	.section	.bss,"aw",@nobits
	.globl	__hip_cuid_222ce440252871f3
__hip_cuid_222ce440252871f3:
	.byte	0                               ; 0x0
	.size	__hip_cuid_222ce440252871f3, 1

	.type	llvm.amdgcn.lds.offset.table,@object ; @llvm.amdgcn.lds.offset.table
	.section	.data.rel.ro,"aw",@progbits
	.p2align	4, 0x0
llvm.amdgcn.lds.offset.table:
	.long	0+16
	.long	0+20
	.long	0
	.long	0+24
	.long	0+28
	;; [unrolled: 1-line block ×8, first 2 shown]
	.long	0
	.long	0+24
	.long	0+28
	;; [unrolled: 1-line block ×6, first 2 shown]
	.size	llvm.amdgcn.lds.offset.table, 72

	.ident	"AMD clang version 22.0.0git (https://github.com/RadeonOpenCompute/llvm-project roc-7.2.4 26084 f58b06dce1f9c15707c5f808fd002e18c2accf7e)"
	.section	".note.GNU-stack","",@progbits
	.addrsig
	.addrsig_sym __hip_cuid_222ce440252871f3
	.amdgpu_metadata
---
amdhsa.kernels:
  - .args:
      - .offset:         0
        .size:           4
        .value_kind:     by_value
      - .offset:         4
        .size:           4
        .value_kind:     by_value
      - .offset:         8
        .size:           4
        .value_kind:     by_value
      - .address_space:  global
        .offset:         16
        .size:           8
        .value_kind:     global_buffer
      - .offset:         24
        .size:           4
        .value_kind:     hidden_block_count_x
      - .offset:         28
        .size:           4
        .value_kind:     hidden_block_count_y
      - .offset:         32
        .size:           4
        .value_kind:     hidden_block_count_z
      - .offset:         36
        .size:           2
        .value_kind:     hidden_group_size_x
      - .offset:         38
        .size:           2
        .value_kind:     hidden_group_size_y
      - .offset:         40
        .size:           2
        .value_kind:     hidden_group_size_z
      - .offset:         42
        .size:           2
        .value_kind:     hidden_remainder_x
      - .offset:         44
        .size:           2
        .value_kind:     hidden_remainder_y
      - .offset:         46
        .size:           2
        .value_kind:     hidden_remainder_z
      - .offset:         64
        .size:           8
        .value_kind:     hidden_global_offset_x
      - .offset:         72
        .size:           8
        .value_kind:     hidden_global_offset_y
      - .offset:         80
        .size:           8
        .value_kind:     hidden_global_offset_z
      - .offset:         88
        .size:           2
        .value_kind:     hidden_grid_dims
    .group_segment_fixed_size: 0
    .kernarg_segment_align: 8
    .kernarg_segment_size: 280
    .language:       OpenCL C
    .language_version:
      - 2
      - 0
    .max_flat_workgroup_size: 512
    .name:           _ZN9rocsolver6v33100L19stedc_update_splitsEiiiPi
    .private_segment_fixed_size: 0
    .sgpr_count:     31
    .sgpr_spill_count: 0
    .symbol:         _ZN9rocsolver6v33100L19stedc_update_splitsEiiiPi.kd
    .uniform_work_group_size: 1
    .uses_dynamic_stack: false
    .vgpr_count:     17
    .vgpr_spill_count: 0
    .wavefront_size: 64
  - .args:
      - .address_space:  global
        .offset:         0
        .size:           8
        .value_kind:     global_buffer
      - .offset:         8
        .size:           4
        .value_kind:     by_value
      - .offset:         12
        .size:           4
        .value_kind:     by_value
      - .offset:         16
        .size:           4
        .value_kind:     by_value
      - .offset:         24
        .size:           4
        .value_kind:     hidden_block_count_x
      - .offset:         28
        .size:           4
        .value_kind:     hidden_block_count_y
      - .offset:         32
        .size:           4
        .value_kind:     hidden_block_count_z
      - .offset:         36
        .size:           2
        .value_kind:     hidden_group_size_x
      - .offset:         38
        .size:           2
        .value_kind:     hidden_group_size_y
      - .offset:         40
        .size:           2
        .value_kind:     hidden_group_size_z
      - .offset:         42
        .size:           2
        .value_kind:     hidden_remainder_x
      - .offset:         44
        .size:           2
        .value_kind:     hidden_remainder_y
      - .offset:         46
        .size:           2
        .value_kind:     hidden_remainder_z
      - .offset:         64
        .size:           8
        .value_kind:     hidden_global_offset_x
      - .offset:         72
        .size:           8
        .value_kind:     hidden_global_offset_y
      - .offset:         80
        .size:           8
        .value_kind:     hidden_global_offset_z
      - .offset:         88
        .size:           2
        .value_kind:     hidden_grid_dims
    .group_segment_fixed_size: 0
    .kernarg_segment_align: 8
    .kernarg_segment_size: 280
    .language:       OpenCL C
    .language_version:
      - 2
      - 0
    .max_flat_workgroup_size: 1024
    .name:           _ZN9rocsolver6v33100L10reset_infoIiiiEEvPT_T0_T1_S4_
    .private_segment_fixed_size: 0
    .sgpr_count:     12
    .sgpr_spill_count: 0
    .symbol:         _ZN9rocsolver6v33100L10reset_infoIiiiEEvPT_T0_T1_S4_.kd
    .uniform_work_group_size: 1
    .uses_dynamic_stack: false
    .vgpr_count:     4
    .vgpr_spill_count: 0
    .wavefront_size: 64
  - .args:
      - .address_space:  global
        .offset:         0
        .size:           8
        .value_kind:     global_buffer
      - .offset:         8
        .size:           8
        .value_kind:     by_value
      - .offset:         16
        .size:           4
        .value_kind:     by_value
      - .offset:         20
        .size:           4
        .value_kind:     by_value
      - .offset:         24
        .size:           4
        .value_kind:     hidden_block_count_x
      - .offset:         28
        .size:           4
        .value_kind:     hidden_block_count_y
      - .offset:         32
        .size:           4
        .value_kind:     hidden_block_count_z
      - .offset:         36
        .size:           2
        .value_kind:     hidden_group_size_x
      - .offset:         38
        .size:           2
        .value_kind:     hidden_group_size_y
      - .offset:         40
        .size:           2
        .value_kind:     hidden_group_size_z
      - .offset:         42
        .size:           2
        .value_kind:     hidden_remainder_x
      - .offset:         44
        .size:           2
        .value_kind:     hidden_remainder_y
      - .offset:         46
        .size:           2
        .value_kind:     hidden_remainder_z
      - .offset:         64
        .size:           8
        .value_kind:     hidden_global_offset_x
      - .offset:         72
        .size:           8
        .value_kind:     hidden_global_offset_y
      - .offset:         80
        .size:           8
        .value_kind:     hidden_global_offset_z
      - .offset:         88
        .size:           2
        .value_kind:     hidden_grid_dims
    .group_segment_fixed_size: 0
    .kernarg_segment_align: 8
    .kernarg_segment_size: 280
    .language:       OpenCL C
    .language_version:
      - 2
      - 0
    .max_flat_workgroup_size: 1024
    .name:           _ZN9rocsolver6v33100L16reset_batch_infoIfiiPfEEvT2_lT0_T1_
    .private_segment_fixed_size: 0
    .sgpr_count:     16
    .sgpr_spill_count: 0
    .symbol:         _ZN9rocsolver6v33100L16reset_batch_infoIfiiPfEEvT2_lT0_T1_.kd
    .uniform_work_group_size: 1
    .uses_dynamic_stack: false
    .vgpr_count:     4
    .vgpr_spill_count: 0
    .wavefront_size: 64
  - .args:
      - .offset:         0
        .size:           4
        .value_kind:     by_value
      - .address_space:  global
        .offset:         8
        .size:           8
        .value_kind:     global_buffer
      - .offset:         16
        .size:           8
        .value_kind:     by_value
      - .address_space:  global
        .offset:         24
        .size:           8
        .value_kind:     global_buffer
      - .offset:         32
        .size:           8
        .value_kind:     by_value
      - .address_space:  global
        .offset:         40
        .size:           8
        .value_kind:     global_buffer
      - .address_space:  global
        .offset:         48
        .size:           8
        .value_kind:     global_buffer
      - .offset:         56
        .size:           4
        .value_kind:     by_value
      - .offset:         60
        .size:           4
        .value_kind:     by_value
      - .offset:         64
        .size:           4
        .value_kind:     by_value
      - .offset:         68
        .size:           4
        .value_kind:     by_value
    .group_segment_fixed_size: 0
    .kernarg_segment_align: 8
    .kernarg_segment_size: 72
    .language:       OpenCL C
    .language_version:
      - 2
      - 0
    .max_flat_workgroup_size: 1024
    .name:           _ZN9rocsolver6v33100L12sterf_kernelIfEEviPT_lS3_lPiS4_iS2_S2_S2_
    .private_segment_fixed_size: 0
    .sgpr_count:     75
    .sgpr_spill_count: 0
    .symbol:         _ZN9rocsolver6v33100L12sterf_kernelIfEEviPT_lS3_lPiS4_iS2_S2_S2_.kd
    .uniform_work_group_size: 1
    .uses_dynamic_stack: false
    .vgpr_count:     26
    .vgpr_spill_count: 0
    .wavefront_size: 64
  - .args:
      - .offset:         0
        .size:           4
        .value_kind:     by_value
      - .offset:         4
        .size:           4
        .value_kind:     by_value
      - .offset:         8
        .size:           4
        .value_kind:     by_value
      - .offset:         12
        .size:           4
        .value_kind:     by_value
      - .offset:         16
        .size:           4
        .value_kind:     by_value
      - .address_space:  global
        .offset:         24
        .size:           8
        .value_kind:     global_buffer
      - .offset:         32
        .size:           8
        .value_kind:     by_value
      - .address_space:  global
        .offset:         40
        .size:           8
        .value_kind:     global_buffer
      - .offset:         48
        .size:           8
        .value_kind:     by_value
      - .address_space:  global
        .offset:         56
        .size:           8
        .value_kind:     global_buffer
      - .offset:         64
        .size:           8
        .value_kind:     by_value
      - .offset:         72
        .size:           4
        .value_kind:     by_value
      - .offset:         80
        .size:           8
        .value_kind:     by_value
      - .offset:         88
        .size:           4
        .value_kind:     by_value
      - .offset:         96
        .size:           4
        .value_kind:     hidden_block_count_x
      - .offset:         100
        .size:           4
        .value_kind:     hidden_block_count_y
      - .offset:         104
        .size:           4
        .value_kind:     hidden_block_count_z
      - .offset:         108
        .size:           2
        .value_kind:     hidden_group_size_x
      - .offset:         110
        .size:           2
        .value_kind:     hidden_group_size_y
      - .offset:         112
        .size:           2
        .value_kind:     hidden_group_size_z
      - .offset:         114
        .size:           2
        .value_kind:     hidden_remainder_x
      - .offset:         116
        .size:           2
        .value_kind:     hidden_remainder_y
      - .offset:         118
        .size:           2
        .value_kind:     hidden_remainder_z
      - .offset:         136
        .size:           8
        .value_kind:     hidden_global_offset_x
      - .offset:         144
        .size:           8
        .value_kind:     hidden_global_offset_y
      - .offset:         152
        .size:           8
        .value_kind:     hidden_global_offset_z
      - .offset:         160
        .size:           2
        .value_kind:     hidden_grid_dims
    .group_segment_fixed_size: 0
    .kernarg_segment_align: 8
    .kernarg_segment_size: 352
    .language:       OpenCL C
    .language_version:
      - 2
      - 0
    .max_flat_workgroup_size: 64
    .name:           _ZN9rocsolver6v33100L11lasr_kernelIffPfiEEv13rocblas_side_14rocblas_pivot_15rocblas_direct_T2_S6_PT0_lS8_lT1_lS6_lS6_
    .private_segment_fixed_size: 0
    .sgpr_count:     100
    .sgpr_spill_count: 11
    .symbol:         _ZN9rocsolver6v33100L11lasr_kernelIffPfiEEv13rocblas_side_14rocblas_pivot_15rocblas_direct_T2_S6_PT0_lS8_lT1_lS6_lS6_.kd
    .uniform_work_group_size: 1
    .uses_dynamic_stack: false
    .vgpr_count:     43
    .vgpr_spill_count: 0
    .wavefront_size: 64
  - .args:
      - .offset:         0
        .size:           4
        .value_kind:     by_value
      - .address_space:  global
        .offset:         8
        .size:           8
        .value_kind:     global_buffer
      - .offset:         16
        .size:           4
        .value_kind:     by_value
      - .address_space:  global
        .offset:         24
        .size:           8
        .value_kind:     global_buffer
      - .offset:         32
        .size:           4
        .value_kind:     by_value
      - .offset:         40
        .size:           4
        .value_kind:     hidden_block_count_x
      - .offset:         44
        .size:           4
        .value_kind:     hidden_block_count_y
      - .offset:         48
        .size:           4
        .value_kind:     hidden_block_count_z
      - .offset:         52
        .size:           2
        .value_kind:     hidden_group_size_x
      - .offset:         54
        .size:           2
        .value_kind:     hidden_group_size_y
      - .offset:         56
        .size:           2
        .value_kind:     hidden_group_size_z
      - .offset:         58
        .size:           2
        .value_kind:     hidden_remainder_x
      - .offset:         60
        .size:           2
        .value_kind:     hidden_remainder_y
      - .offset:         62
        .size:           2
        .value_kind:     hidden_remainder_z
      - .offset:         80
        .size:           8
        .value_kind:     hidden_global_offset_x
      - .offset:         88
        .size:           8
        .value_kind:     hidden_global_offset_y
      - .offset:         96
        .size:           8
        .value_kind:     hidden_global_offset_z
      - .offset:         104
        .size:           2
        .value_kind:     hidden_grid_dims
    .group_segment_fixed_size: 0
    .kernarg_segment_align: 8
    .kernarg_segment_size: 296
    .language:       OpenCL C
    .language_version:
      - 2
      - 0
    .max_flat_workgroup_size: 1024
    .name:           _ZN9rocsolver6v33100L11swap_kernelIfiEEvT0_PT_S2_S4_S2_
    .private_segment_fixed_size: 0
    .sgpr_count:     21
    .sgpr_spill_count: 0
    .symbol:         _ZN9rocsolver6v33100L11swap_kernelIfiEEvT0_PT_S2_S4_S2_.kd
    .uniform_work_group_size: 1
    .uses_dynamic_stack: false
    .vgpr_count:     12
    .vgpr_spill_count: 0
    .wavefront_size: 64
  - .args:
      - .offset:         0
        .size:           4
        .value_kind:     by_value
      - .address_space:  global
        .offset:         8
        .size:           8
        .value_kind:     global_buffer
      - .offset:         16
        .size:           8
        .value_kind:     by_value
      - .address_space:  global
        .offset:         24
        .size:           8
        .value_kind:     global_buffer
      - .offset:         32
        .size:           8
        .value_kind:     by_value
      - .address_space:  global
        .offset:         40
        .size:           8
        .value_kind:     global_buffer
      - .offset:         48
        .size:           4
        .value_kind:     by_value
      - .offset:         52
        .size:           4
        .value_kind:     by_value
      - .offset:         56
        .size:           8
        .value_kind:     by_value
      - .address_space:  global
        .offset:         64
        .size:           8
        .value_kind:     global_buffer
      - .address_space:  global
        .offset:         72
        .size:           8
        .value_kind:     global_buffer
      - .offset:         80
        .size:           4
        .value_kind:     by_value
      - .offset:         84
        .size:           4
        .value_kind:     by_value
      - .offset:         88
        .size:           4
        .value_kind:     by_value
      - .offset:         92
        .size:           4
        .value_kind:     by_value
      - .offset:         96
        .size:           4
        .value_kind:     hidden_block_count_x
      - .offset:         100
        .size:           4
        .value_kind:     hidden_block_count_y
      - .offset:         104
        .size:           4
        .value_kind:     hidden_block_count_z
      - .offset:         108
        .size:           2
        .value_kind:     hidden_group_size_x
      - .offset:         110
        .size:           2
        .value_kind:     hidden_group_size_y
      - .offset:         112
        .size:           2
        .value_kind:     hidden_group_size_z
      - .offset:         114
        .size:           2
        .value_kind:     hidden_remainder_x
      - .offset:         116
        .size:           2
        .value_kind:     hidden_remainder_y
      - .offset:         118
        .size:           2
        .value_kind:     hidden_remainder_z
      - .offset:         136
        .size:           8
        .value_kind:     hidden_global_offset_x
      - .offset:         144
        .size:           8
        .value_kind:     hidden_global_offset_y
      - .offset:         152
        .size:           8
        .value_kind:     hidden_global_offset_z
      - .offset:         160
        .size:           2
        .value_kind:     hidden_grid_dims
    .group_segment_fixed_size: 36
    .kernarg_segment_align: 8
    .kernarg_segment_size: 352
    .language:       OpenCL C
    .language_version:
      - 2
      - 0
    .max_flat_workgroup_size: 1024
    .name:           _ZN9rocsolver6v33100L12steqr_kernelIffPfEEviPT0_lS4_lT1_iilPiS4_iS3_S3_S3_
    .private_segment_fixed_size: 188
    .sgpr_count:     67
    .sgpr_spill_count: 0
    .symbol:         _ZN9rocsolver6v33100L12steqr_kernelIffPfEEviPT0_lS4_lT1_iilPiS4_iS3_S3_S3_.kd
    .uniform_work_group_size: 1
    .uses_dynamic_stack: false
    .vgpr_count:     64
    .vgpr_spill_count: 0
    .wavefront_size: 64
  - .args:
      - .offset:         0
        .size:           4
        .value_kind:     by_value
      - .offset:         4
        .size:           4
        .value_kind:     by_value
      - .address_space:  global
        .offset:         8
        .size:           8
        .value_kind:     global_buffer
      - .offset:         16
        .size:           4
        .value_kind:     by_value
      - .offset:         20
        .size:           4
        .value_kind:     by_value
      - .offset:         24
        .size:           8
        .value_kind:     by_value
      - .offset:         32
        .size:           4
        .value_kind:     hidden_block_count_x
      - .offset:         36
        .size:           4
        .value_kind:     hidden_block_count_y
      - .offset:         40
        .size:           4
        .value_kind:     hidden_block_count_z
      - .offset:         44
        .size:           2
        .value_kind:     hidden_group_size_x
      - .offset:         46
        .size:           2
        .value_kind:     hidden_group_size_y
      - .offset:         48
        .size:           2
        .value_kind:     hidden_group_size_z
      - .offset:         50
        .size:           2
        .value_kind:     hidden_remainder_x
      - .offset:         52
        .size:           2
        .value_kind:     hidden_remainder_y
      - .offset:         54
        .size:           2
        .value_kind:     hidden_remainder_z
      - .offset:         72
        .size:           8
        .value_kind:     hidden_global_offset_x
      - .offset:         80
        .size:           8
        .value_kind:     hidden_global_offset_y
      - .offset:         88
        .size:           8
        .value_kind:     hidden_global_offset_z
      - .offset:         96
        .size:           2
        .value_kind:     hidden_grid_dims
    .group_segment_fixed_size: 0
    .kernarg_segment_align: 8
    .kernarg_segment_size: 288
    .language:       OpenCL C
    .language_version:
      - 2
      - 0
    .max_flat_workgroup_size: 1024
    .name:           _ZN9rocsolver6v33100L10init_identIfPfEEviiT0_iil
    .private_segment_fixed_size: 0
    .sgpr_count:     13
    .sgpr_spill_count: 0
    .symbol:         _ZN9rocsolver6v33100L10init_identIfPfEEviiT0_iil.kd
    .uniform_work_group_size: 1
    .uses_dynamic_stack: false
    .vgpr_count:     4
    .vgpr_spill_count: 0
    .wavefront_size: 64
  - .args:
      - .offset:         0
        .size:           4
        .value_kind:     by_value
      - .offset:         4
        .size:           4
        .value_kind:     by_value
      - .offset:         8
        .size:           4
        .value_kind:     by_value
      - .address_space:  global
        .offset:         16
        .size:           8
        .value_kind:     global_buffer
      - .offset:         24
        .size:           8
        .value_kind:     by_value
      - .address_space:  global
        .offset:         32
        .size:           8
        .value_kind:     global_buffer
      - .offset:         40
        .size:           8
        .value_kind:     by_value
      - .offset:         48
        .size:           4
        .value_kind:     by_value
      - .address_space:  global
        .offset:         56
        .size:           8
        .value_kind:     global_buffer
      - .offset:         64
        .size:           4
        .value_kind:     hidden_block_count_x
      - .offset:         68
        .size:           4
        .value_kind:     hidden_block_count_y
      - .offset:         72
        .size:           4
        .value_kind:     hidden_block_count_z
      - .offset:         76
        .size:           2
        .value_kind:     hidden_group_size_x
      - .offset:         78
        .size:           2
        .value_kind:     hidden_group_size_y
      - .offset:         80
        .size:           2
        .value_kind:     hidden_group_size_z
      - .offset:         82
        .size:           2
        .value_kind:     hidden_remainder_x
      - .offset:         84
        .size:           2
        .value_kind:     hidden_remainder_y
      - .offset:         86
        .size:           2
        .value_kind:     hidden_remainder_z
      - .offset:         104
        .size:           8
        .value_kind:     hidden_global_offset_x
      - .offset:         112
        .size:           8
        .value_kind:     hidden_global_offset_y
      - .offset:         120
        .size:           8
        .value_kind:     hidden_global_offset_z
      - .offset:         128
        .size:           2
        .value_kind:     hidden_grid_dims
    .group_segment_fixed_size: 0
    .kernarg_segment_align: 8
    .kernarg_segment_size: 320
    .language:       OpenCL C
    .language_version:
      - 2
      - 0
    .max_flat_workgroup_size: 512
    .name:           _ZN9rocsolver6v33100L19stedc_divide_kernelIfEEviiiPT_lS3_liPi
    .private_segment_fixed_size: 0
    .sgpr_count:     24
    .sgpr_spill_count: 0
    .symbol:         _ZN9rocsolver6v33100L19stedc_divide_kernelIfEEviiiPT_lS3_liPi.kd
    .uniform_work_group_size: 1
    .uses_dynamic_stack: false
    .vgpr_count:     15
    .vgpr_spill_count: 0
    .wavefront_size: 64
  - .args:
      - .offset:         0
        .size:           4
        .value_kind:     by_value
      - .offset:         4
        .size:           4
        .value_kind:     by_value
      - .address_space:  global
        .offset:         8
        .size:           8
        .value_kind:     global_buffer
      - .offset:         16
        .size:           8
        .value_kind:     by_value
      - .address_space:  global
        .offset:         24
        .size:           8
        .value_kind:     global_buffer
      - .offset:         32
        .size:           8
        .value_kind:     by_value
      - .address_space:  global
        .offset:         40
        .size:           8
        .value_kind:     global_buffer
      - .offset:         48
        .size:           4
        .value_kind:     by_value
      - .offset:         52
        .size:           4
        .value_kind:     by_value
      - .offset:         56
        .size:           8
        .value_kind:     by_value
      - .address_space:  global
        .offset:         64
        .size:           8
        .value_kind:     global_buffer
      - .address_space:  global
        .offset:         72
        .size:           8
        .value_kind:     global_buffer
      - .address_space:  global
        .offset:         80
        .size:           8
        .value_kind:     global_buffer
      - .offset:         88
        .size:           4
        .value_kind:     by_value
      - .offset:         92
        .size:           4
        .value_kind:     by_value
      - .offset:         96
        .size:           4
        .value_kind:     by_value
      - .offset:         104
        .size:           4
        .value_kind:     hidden_block_count_x
      - .offset:         108
        .size:           4
        .value_kind:     hidden_block_count_y
      - .offset:         112
        .size:           4
        .value_kind:     hidden_block_count_z
      - .offset:         116
        .size:           2
        .value_kind:     hidden_group_size_x
      - .offset:         118
        .size:           2
        .value_kind:     hidden_group_size_y
      - .offset:         120
        .size:           2
        .value_kind:     hidden_group_size_z
      - .offset:         122
        .size:           2
        .value_kind:     hidden_remainder_x
      - .offset:         124
        .size:           2
        .value_kind:     hidden_remainder_y
      - .offset:         126
        .size:           2
        .value_kind:     hidden_remainder_z
      - .offset:         144
        .size:           8
        .value_kind:     hidden_global_offset_x
      - .offset:         152
        .size:           8
        .value_kind:     hidden_global_offset_y
      - .offset:         160
        .size:           8
        .value_kind:     hidden_global_offset_z
      - .offset:         168
        .size:           2
        .value_kind:     hidden_grid_dims
    .group_segment_fixed_size: 36
    .kernarg_segment_align: 8
    .kernarg_segment_size: 360
    .language:       OpenCL C
    .language_version:
      - 2
      - 0
    .max_flat_workgroup_size: 512
    .name:           _ZN9rocsolver6v33100L18stedc_solve_kernelIfEEviiPT_lS3_lS3_iilPiS3_S4_S2_S2_S2_
    .private_segment_fixed_size: 188
    .sgpr_count:     67
    .sgpr_spill_count: 0
    .symbol:         _ZN9rocsolver6v33100L18stedc_solve_kernelIfEEviiPT_lS3_lS3_iilPiS3_S4_S2_S2_S2_.kd
    .uniform_work_group_size: 1
    .uses_dynamic_stack: false
    .vgpr_count:     64
    .vgpr_spill_count: 0
    .wavefront_size: 64
  - .args:
      - .offset:         0
        .size:           4
        .value_kind:     by_value
      - .offset:         4
        .size:           4
        .value_kind:     by_value
      - .address_space:  global
        .offset:         8
        .size:           8
        .value_kind:     global_buffer
      - .offset:         16
        .size:           8
        .value_kind:     by_value
      - .address_space:  global
        .offset:         24
        .size:           8
        .value_kind:     global_buffer
      - .offset:         32
        .size:           8
        .value_kind:     by_value
      - .address_space:  global
        .offset:         40
        .size:           8
        .value_kind:     global_buffer
      - .offset:         48
        .size:           4
        .value_kind:     by_value
      - .offset:         52
        .size:           4
        .value_kind:     by_value
      - .offset:         56
        .size:           8
        .value_kind:     by_value
      - .address_space:  global
        .offset:         64
        .size:           8
        .value_kind:     global_buffer
      - .address_space:  global
        .offset:         72
        .size:           8
        .value_kind:     global_buffer
      - .offset:         80
        .size:           4
        .value_kind:     by_value
      - .offset:         88
        .size:           4
        .value_kind:     hidden_block_count_x
      - .offset:         92
        .size:           4
        .value_kind:     hidden_block_count_y
      - .offset:         96
        .size:           4
        .value_kind:     hidden_block_count_z
      - .offset:         100
        .size:           2
        .value_kind:     hidden_group_size_x
      - .offset:         102
        .size:           2
        .value_kind:     hidden_group_size_y
      - .offset:         104
        .size:           2
        .value_kind:     hidden_group_size_z
      - .offset:         106
        .size:           2
        .value_kind:     hidden_remainder_x
      - .offset:         108
        .size:           2
        .value_kind:     hidden_remainder_y
      - .offset:         110
        .size:           2
        .value_kind:     hidden_remainder_z
      - .offset:         128
        .size:           8
        .value_kind:     hidden_global_offset_x
      - .offset:         136
        .size:           8
        .value_kind:     hidden_global_offset_y
      - .offset:         144
        .size:           8
        .value_kind:     hidden_global_offset_z
      - .offset:         152
        .size:           2
        .value_kind:     hidden_grid_dims
    .group_segment_fixed_size: 4096
    .kernarg_segment_align: 8
    .kernarg_segment_size: 344
    .language:       OpenCL C
    .language_version:
      - 2
      - 0
    .max_flat_workgroup_size: 512
    .name:           _ZN9rocsolver6v33100L37stedc_mergePrepare_DeflateZero_kernelIfEEviiPT_lS3_lS3_iilS3_PiS2_
    .private_segment_fixed_size: 0
    .sgpr_count:     46
    .sgpr_spill_count: 0
    .symbol:         _ZN9rocsolver6v33100L37stedc_mergePrepare_DeflateZero_kernelIfEEviiPT_lS3_lS3_iilS3_PiS2_.kd
    .uniform_work_group_size: 1
    .uses_dynamic_stack: false
    .vgpr_count:     18
    .vgpr_spill_count: 0
    .wavefront_size: 64
  - .args:
      - .offset:         0
        .size:           4
        .value_kind:     by_value
      - .offset:         4
        .size:           4
        .value_kind:     by_value
      - .address_space:  global
        .offset:         8
        .size:           8
        .value_kind:     global_buffer
      - .offset:         16
        .size:           8
        .value_kind:     by_value
      - .address_space:  global
        .offset:         24
        .size:           8
        .value_kind:     global_buffer
      - .address_space:  global
        .offset:         32
        .size:           8
        .value_kind:     global_buffer
      - .offset:         40
        .size:           4
        .value_kind:     hidden_block_count_x
      - .offset:         44
        .size:           4
        .value_kind:     hidden_block_count_y
      - .offset:         48
        .size:           4
        .value_kind:     hidden_block_count_z
      - .offset:         52
        .size:           2
        .value_kind:     hidden_group_size_x
      - .offset:         54
        .size:           2
        .value_kind:     hidden_group_size_y
      - .offset:         56
        .size:           2
        .value_kind:     hidden_group_size_z
      - .offset:         58
        .size:           2
        .value_kind:     hidden_remainder_x
      - .offset:         60
        .size:           2
        .value_kind:     hidden_remainder_y
      - .offset:         62
        .size:           2
        .value_kind:     hidden_remainder_z
      - .offset:         80
        .size:           8
        .value_kind:     hidden_global_offset_x
      - .offset:         88
        .size:           8
        .value_kind:     hidden_global_offset_y
      - .offset:         96
        .size:           8
        .value_kind:     hidden_global_offset_z
      - .offset:         104
        .size:           2
        .value_kind:     hidden_grid_dims
    .group_segment_fixed_size: 4096
    .kernarg_segment_align: 8
    .kernarg_segment_size: 296
    .language:       OpenCL C
    .language_version:
      - 2
      - 0
    .max_flat_workgroup_size: 512
    .name:           _ZN9rocsolver6v33100L31stedc_mergePrepare_SortD_kernelIfEEviiPT_lS3_Pi
    .private_segment_fixed_size: 0
    .sgpr_count:     54
    .sgpr_spill_count: 0
    .symbol:         _ZN9rocsolver6v33100L31stedc_mergePrepare_SortD_kernelIfEEviiPT_lS3_Pi.kd
    .uniform_work_group_size: 1
    .uses_dynamic_stack: false
    .vgpr_count:     35
    .vgpr_spill_count: 0
    .wavefront_size: 64
  - .args:
      - .offset:         0
        .size:           4
        .value_kind:     by_value
      - .offset:         4
        .size:           4
        .value_kind:     by_value
      - .address_space:  global
        .offset:         8
        .size:           8
        .value_kind:     global_buffer
      - .offset:         16
        .size:           8
        .value_kind:     by_value
      - .address_space:  global
        .offset:         24
        .size:           8
        .value_kind:     global_buffer
      - .address_space:  global
        .offset:         32
        .size:           8
        .value_kind:     global_buffer
      - .offset:         40
        .size:           4
        .value_kind:     hidden_block_count_x
      - .offset:         44
        .size:           4
        .value_kind:     hidden_block_count_y
      - .offset:         48
        .size:           4
        .value_kind:     hidden_block_count_z
      - .offset:         52
        .size:           2
        .value_kind:     hidden_group_size_x
      - .offset:         54
        .size:           2
        .value_kind:     hidden_group_size_y
      - .offset:         56
        .size:           2
        .value_kind:     hidden_group_size_z
      - .offset:         58
        .size:           2
        .value_kind:     hidden_remainder_x
      - .offset:         60
        .size:           2
        .value_kind:     hidden_remainder_y
      - .offset:         62
        .size:           2
        .value_kind:     hidden_remainder_z
      - .offset:         80
        .size:           8
        .value_kind:     hidden_global_offset_x
      - .offset:         88
        .size:           8
        .value_kind:     hidden_global_offset_y
      - .offset:         96
        .size:           8
        .value_kind:     hidden_global_offset_z
      - .offset:         104
        .size:           2
        .value_kind:     hidden_grid_dims
    .group_segment_fixed_size: 0
    .kernarg_segment_align: 8
    .kernarg_segment_size: 296
    .language:       OpenCL C
    .language_version:
      - 2
      - 0
    .max_flat_workgroup_size: 512
    .name:           _ZN9rocsolver6v33100L38stedc_mergePrepare_SetCandFlags_kernelIfEEviiPT_lS3_Pi
    .private_segment_fixed_size: 0
    .sgpr_count:     17
    .sgpr_spill_count: 0
    .symbol:         _ZN9rocsolver6v33100L38stedc_mergePrepare_SetCandFlags_kernelIfEEviiPT_lS3_Pi.kd
    .uniform_work_group_size: 1
    .uses_dynamic_stack: false
    .vgpr_count:     16
    .vgpr_spill_count: 0
    .wavefront_size: 64
  - .args:
      - .offset:         0
        .size:           4
        .value_kind:     by_value
      - .offset:         4
        .size:           4
        .value_kind:     by_value
      - .address_space:  global
        .offset:         8
        .size:           8
        .value_kind:     global_buffer
      - .offset:         16
        .size:           8
        .value_kind:     by_value
      - .address_space:  global
        .offset:         24
        .size:           8
        .value_kind:     global_buffer
      - .address_space:  global
        .offset:         32
        .size:           8
        .value_kind:     global_buffer
      - .offset:         40
        .size:           4
        .value_kind:     hidden_block_count_x
      - .offset:         44
        .size:           4
        .value_kind:     hidden_block_count_y
      - .offset:         48
        .size:           4
        .value_kind:     hidden_block_count_z
      - .offset:         52
        .size:           2
        .value_kind:     hidden_group_size_x
      - .offset:         54
        .size:           2
        .value_kind:     hidden_group_size_y
      - .offset:         56
        .size:           2
        .value_kind:     hidden_group_size_z
      - .offset:         58
        .size:           2
        .value_kind:     hidden_remainder_x
      - .offset:         60
        .size:           2
        .value_kind:     hidden_remainder_y
      - .offset:         62
        .size:           2
        .value_kind:     hidden_remainder_z
      - .offset:         80
        .size:           8
        .value_kind:     hidden_global_offset_x
      - .offset:         88
        .size:           8
        .value_kind:     hidden_global_offset_y
      - .offset:         96
        .size:           8
        .value_kind:     hidden_global_offset_z
      - .offset:         104
        .size:           2
        .value_kind:     hidden_grid_dims
    .group_segment_fixed_size: 32768
    .kernarg_segment_align: 8
    .kernarg_segment_size: 296
    .language:       OpenCL C
    .language_version:
      - 2
      - 0
    .max_flat_workgroup_size: 512
    .name:           _ZN9rocsolver6v33100L38stedc_mergePrepare_DeflateCount_kernelIfEEviiPT_lS3_Pi
    .private_segment_fixed_size: 0
    .sgpr_count:     33
    .sgpr_spill_count: 0
    .symbol:         _ZN9rocsolver6v33100L38stedc_mergePrepare_DeflateCount_kernelIfEEviiPT_lS3_Pi.kd
    .uniform_work_group_size: 1
    .uses_dynamic_stack: false
    .vgpr_count:     16
    .vgpr_spill_count: 0
    .wavefront_size: 64
  - .args:
      - .offset:         0
        .size:           4
        .value_kind:     by_value
      - .offset:         4
        .size:           4
        .value_kind:     by_value
      - .address_space:  global
        .offset:         8
        .size:           8
        .value_kind:     global_buffer
      - .offset:         16
        .size:           8
        .value_kind:     by_value
      - .address_space:  global
        .offset:         24
        .size:           8
        .value_kind:     global_buffer
      - .address_space:  global
        .offset:         32
        .size:           8
        .value_kind:     global_buffer
      - .offset:         40
        .size:           4
        .value_kind:     hidden_block_count_x
      - .offset:         44
        .size:           4
        .value_kind:     hidden_block_count_y
      - .offset:         48
        .size:           4
        .value_kind:     hidden_block_count_z
      - .offset:         52
        .size:           2
        .value_kind:     hidden_group_size_x
      - .offset:         54
        .size:           2
        .value_kind:     hidden_group_size_y
      - .offset:         56
        .size:           2
        .value_kind:     hidden_group_size_z
      - .offset:         58
        .size:           2
        .value_kind:     hidden_remainder_x
      - .offset:         60
        .size:           2
        .value_kind:     hidden_remainder_y
      - .offset:         62
        .size:           2
        .value_kind:     hidden_remainder_z
      - .offset:         80
        .size:           8
        .value_kind:     hidden_global_offset_x
      - .offset:         88
        .size:           8
        .value_kind:     hidden_global_offset_y
      - .offset:         96
        .size:           8
        .value_kind:     hidden_global_offset_z
      - .offset:         104
        .size:           2
        .value_kind:     hidden_grid_dims
    .group_segment_fixed_size: 32768
    .kernarg_segment_align: 8
    .kernarg_segment_size: 296
    .language:       OpenCL C
    .language_version:
      - 2
      - 0
    .max_flat_workgroup_size: 512
    .name:           _ZN9rocsolver6v33100L38stedc_mergePrepare_DeflateApply_kernelIfEEviiPT_lS3_Pi
    .private_segment_fixed_size: 0
    .sgpr_count:     28
    .sgpr_spill_count: 0
    .symbol:         _ZN9rocsolver6v33100L38stedc_mergePrepare_DeflateApply_kernelIfEEviiPT_lS3_Pi.kd
    .uniform_work_group_size: 1
    .uses_dynamic_stack: false
    .vgpr_count:     25
    .vgpr_spill_count: 0
    .wavefront_size: 64
  - .args:
      - .offset:         0
        .size:           4
        .value_kind:     by_value
      - .offset:         4
        .size:           4
        .value_kind:     by_value
      - .address_space:  global
        .offset:         8
        .size:           8
        .value_kind:     global_buffer
      - .offset:         16
        .size:           4
        .value_kind:     by_value
      - .offset:         20
        .size:           4
        .value_kind:     by_value
      - .offset:         24
        .size:           8
        .value_kind:     by_value
      - .address_space:  global
        .offset:         32
        .size:           8
        .value_kind:     global_buffer
      - .address_space:  global
        .offset:         40
        .size:           8
        .value_kind:     global_buffer
      - .offset:         48
        .size:           4
        .value_kind:     hidden_block_count_x
      - .offset:         52
        .size:           4
        .value_kind:     hidden_block_count_y
      - .offset:         56
        .size:           4
        .value_kind:     hidden_block_count_z
      - .offset:         60
        .size:           2
        .value_kind:     hidden_group_size_x
      - .offset:         62
        .size:           2
        .value_kind:     hidden_group_size_y
      - .offset:         64
        .size:           2
        .value_kind:     hidden_group_size_z
      - .offset:         66
        .size:           2
        .value_kind:     hidden_remainder_x
      - .offset:         68
        .size:           2
        .value_kind:     hidden_remainder_y
      - .offset:         70
        .size:           2
        .value_kind:     hidden_remainder_z
      - .offset:         88
        .size:           8
        .value_kind:     hidden_global_offset_x
      - .offset:         96
        .size:           8
        .value_kind:     hidden_global_offset_y
      - .offset:         104
        .size:           8
        .value_kind:     hidden_global_offset_z
      - .offset:         112
        .size:           2
        .value_kind:     hidden_grid_dims
    .group_segment_fixed_size: 0
    .kernarg_segment_align: 8
    .kernarg_segment_size: 304
    .language:       OpenCL C
    .language_version:
      - 2
      - 0
    .max_flat_workgroup_size: 512
    .name:           _ZN9rocsolver6v33100L24stedc_mergeRotate_kernelIfEEviiPT_iilS3_Pi
    .private_segment_fixed_size: 0
    .sgpr_count:     63
    .sgpr_spill_count: 0
    .symbol:         _ZN9rocsolver6v33100L24stedc_mergeRotate_kernelIfEEviiPT_iilS3_Pi.kd
    .uniform_work_group_size: 1
    .uses_dynamic_stack: false
    .vgpr_count:     118
    .vgpr_spill_count: 0
    .wavefront_size: 64
  - .args:
      - .offset:         0
        .size:           4
        .value_kind:     by_value
      - .offset:         4
        .size:           4
        .value_kind:     by_value
      - .address_space:  global
        .offset:         8
        .size:           8
        .value_kind:     global_buffer
      - .offset:         16
        .size:           8
        .value_kind:     by_value
      - .address_space:  global
        .offset:         24
        .size:           8
        .value_kind:     global_buffer
      - .address_space:  global
        .offset:         32
        .size:           8
        .value_kind:     global_buffer
      - .offset:         40
        .size:           4
        .value_kind:     hidden_block_count_x
      - .offset:         44
        .size:           4
        .value_kind:     hidden_block_count_y
      - .offset:         48
        .size:           4
        .value_kind:     hidden_block_count_z
      - .offset:         52
        .size:           2
        .value_kind:     hidden_group_size_x
      - .offset:         54
        .size:           2
        .value_kind:     hidden_group_size_y
      - .offset:         56
        .size:           2
        .value_kind:     hidden_group_size_z
      - .offset:         58
        .size:           2
        .value_kind:     hidden_remainder_x
      - .offset:         60
        .size:           2
        .value_kind:     hidden_remainder_y
      - .offset:         62
        .size:           2
        .value_kind:     hidden_remainder_z
      - .offset:         80
        .size:           8
        .value_kind:     hidden_global_offset_x
      - .offset:         88
        .size:           8
        .value_kind:     hidden_global_offset_y
      - .offset:         96
        .size:           8
        .value_kind:     hidden_global_offset_z
      - .offset:         104
        .size:           2
        .value_kind:     hidden_grid_dims
    .group_segment_fixed_size: 4096
    .kernarg_segment_align: 8
    .kernarg_segment_size: 296
    .language:       OpenCL C
    .language_version:
      - 2
      - 0
    .max_flat_workgroup_size: 512
    .name:           _ZN9rocsolver6v33100L31stedc_mergeValues_SortDZ_kernelIfEEviiPT_lS3_Pi
    .private_segment_fixed_size: 0
    .sgpr_count:     61
    .sgpr_spill_count: 0
    .symbol:         _ZN9rocsolver6v33100L31stedc_mergeValues_SortDZ_kernelIfEEviiPT_lS3_Pi.kd
    .uniform_work_group_size: 1
    .uses_dynamic_stack: false
    .vgpr_count:     37
    .vgpr_spill_count: 0
    .wavefront_size: 64
  - .args:
      - .offset:         0
        .size:           4
        .value_kind:     by_value
      - .offset:         4
        .size:           4
        .value_kind:     by_value
      - .address_space:  global
        .offset:         8
        .size:           8
        .value_kind:     global_buffer
      - .offset:         16
        .size:           8
        .value_kind:     by_value
      - .address_space:  global
        .offset:         24
        .size:           8
        .value_kind:     global_buffer
      - .address_space:  global
        .offset:         32
        .size:           8
        .value_kind:     global_buffer
      - .address_space:  global
        .offset:         40
        .size:           8
        .value_kind:     global_buffer
      - .offset:         48
        .size:           4
        .value_kind:     hidden_block_count_x
      - .offset:         52
        .size:           4
        .value_kind:     hidden_block_count_y
      - .offset:         56
        .size:           4
        .value_kind:     hidden_block_count_z
      - .offset:         60
        .size:           2
        .value_kind:     hidden_group_size_x
      - .offset:         62
        .size:           2
        .value_kind:     hidden_group_size_y
      - .offset:         64
        .size:           2
        .value_kind:     hidden_group_size_z
      - .offset:         66
        .size:           2
        .value_kind:     hidden_remainder_x
      - .offset:         68
        .size:           2
        .value_kind:     hidden_remainder_y
      - .offset:         70
        .size:           2
        .value_kind:     hidden_remainder_z
      - .offset:         88
        .size:           8
        .value_kind:     hidden_global_offset_x
      - .offset:         96
        .size:           8
        .value_kind:     hidden_global_offset_y
      - .offset:         104
        .size:           8
        .value_kind:     hidden_global_offset_z
      - .offset:         112
        .size:           2
        .value_kind:     hidden_grid_dims
    .group_segment_fixed_size: 0
    .kernarg_segment_align: 8
    .kernarg_segment_size: 304
    .language:       OpenCL C
    .language_version:
      - 2
      - 0
    .max_flat_workgroup_size: 512
    .name:           _ZN9rocsolver6v33100L30stedc_mergeValues_copyD_kernelIfEEviiPT_lS3_S3_Pi
    .private_segment_fixed_size: 0
    .sgpr_count:     27
    .sgpr_spill_count: 0
    .symbol:         _ZN9rocsolver6v33100L30stedc_mergeValues_copyD_kernelIfEEviiPT_lS3_S3_Pi.kd
    .uniform_work_group_size: 1
    .uses_dynamic_stack: false
    .vgpr_count:     6
    .vgpr_spill_count: 0
    .wavefront_size: 64
  - .args:
      - .offset:         0
        .size:           4
        .value_kind:     by_value
      - .address_space:  global
        .offset:         8
        .size:           8
        .value_kind:     global_buffer
      - .offset:         16
        .size:           4
        .value_kind:     by_value
      - .offset:         20
        .size:           4
        .value_kind:     by_value
      - .offset:         24
        .size:           8
        .value_kind:     by_value
      - .address_space:  global
        .offset:         32
        .size:           8
        .value_kind:     global_buffer
      - .offset:         40
        .size:           4
        .value_kind:     by_value
      - .offset:         44
        .size:           4
        .value_kind:     by_value
      - .offset:         48
        .size:           8
        .value_kind:     by_value
      - .offset:         56
        .size:           4
        .value_kind:     hidden_block_count_x
      - .offset:         60
        .size:           4
        .value_kind:     hidden_block_count_y
      - .offset:         64
        .size:           4
        .value_kind:     hidden_block_count_z
      - .offset:         68
        .size:           2
        .value_kind:     hidden_group_size_x
      - .offset:         70
        .size:           2
        .value_kind:     hidden_group_size_y
      - .offset:         72
        .size:           2
        .value_kind:     hidden_group_size_z
      - .offset:         74
        .size:           2
        .value_kind:     hidden_remainder_x
      - .offset:         76
        .size:           2
        .value_kind:     hidden_remainder_y
      - .offset:         78
        .size:           2
        .value_kind:     hidden_remainder_z
      - .offset:         96
        .size:           8
        .value_kind:     hidden_global_offset_x
      - .offset:         104
        .size:           8
        .value_kind:     hidden_global_offset_y
      - .offset:         112
        .size:           8
        .value_kind:     hidden_global_offset_z
      - .offset:         120
        .size:           2
        .value_kind:     hidden_grid_dims
    .group_segment_fixed_size: 0
    .kernarg_segment_align: 8
    .kernarg_segment_size: 312
    .language:       OpenCL C
    .language_version:
      - 2
      - 0
    .max_flat_workgroup_size: 512
    .name:           _ZN9rocsolver6v33100L11stedc_copyCIfPfS2_EEviT0_iilT1_iil
    .private_segment_fixed_size: 0
    .sgpr_count:     61
    .sgpr_spill_count: 0
    .symbol:         _ZN9rocsolver6v33100L11stedc_copyCIfPfS2_EEviT0_iilT1_iil.kd
    .uniform_work_group_size: 1
    .uses_dynamic_stack: false
    .vgpr_count:     50
    .vgpr_spill_count: 0
    .wavefront_size: 64
  - .args:
      - .offset:         0
        .size:           4
        .value_kind:     by_value
      - .address_space:  global
        .offset:         8
        .size:           8
        .value_kind:     global_buffer
      - .offset:         16
        .size:           4
        .value_kind:     by_value
      - .offset:         20
        .size:           4
        .value_kind:     by_value
      - .offset:         24
        .size:           8
        .value_kind:     by_value
      - .address_space:  global
        .offset:         32
        .size:           8
        .value_kind:     global_buffer
      - .offset:         40
        .size:           4
        .value_kind:     by_value
      - .offset:         44
        .size:           4
        .value_kind:     by_value
      - .offset:         48
        .size:           8
        .value_kind:     by_value
      - .address_space:  global
        .offset:         56
        .size:           8
        .value_kind:     global_buffer
      - .offset:         64
        .size:           4
        .value_kind:     hidden_block_count_x
      - .offset:         68
        .size:           4
        .value_kind:     hidden_block_count_y
      - .offset:         72
        .size:           4
        .value_kind:     hidden_block_count_z
      - .offset:         76
        .size:           2
        .value_kind:     hidden_group_size_x
      - .offset:         78
        .size:           2
        .value_kind:     hidden_group_size_y
      - .offset:         80
        .size:           2
        .value_kind:     hidden_group_size_z
      - .offset:         82
        .size:           2
        .value_kind:     hidden_remainder_x
      - .offset:         84
        .size:           2
        .value_kind:     hidden_remainder_y
      - .offset:         86
        .size:           2
        .value_kind:     hidden_remainder_z
      - .offset:         104
        .size:           8
        .value_kind:     hidden_global_offset_x
      - .offset:         112
        .size:           8
        .value_kind:     hidden_global_offset_y
      - .offset:         120
        .size:           8
        .value_kind:     hidden_global_offset_z
      - .offset:         128
        .size:           2
        .value_kind:     hidden_grid_dims
    .group_segment_fixed_size: 0
    .kernarg_segment_align: 8
    .kernarg_segment_size: 320
    .language:       OpenCL C
    .language_version:
      - 2
      - 0
    .max_flat_workgroup_size: 512
    .name:           _ZN9rocsolver6v33100L16stedc_reshuffleCIfPfS2_EEviT0_iilT1_iilPi
    .private_segment_fixed_size: 0
    .sgpr_count:     61
    .sgpr_spill_count: 0
    .symbol:         _ZN9rocsolver6v33100L16stedc_reshuffleCIfPfS2_EEviT0_iilT1_iilPi.kd
    .uniform_work_group_size: 1
    .uses_dynamic_stack: false
    .vgpr_count:     50
    .vgpr_spill_count: 0
    .wavefront_size: 64
  - .args:
      - .offset:         0
        .size:           4
        .value_kind:     by_value
      - .offset:         4
        .size:           4
        .value_kind:     by_value
      - .address_space:  global
        .offset:         8
        .size:           8
        .value_kind:     global_buffer
      - .offset:         16
        .size:           8
        .value_kind:     by_value
      - .address_space:  global
        .offset:         24
        .size:           8
        .value_kind:     global_buffer
      - .offset:         32
        .size:           8
        .value_kind:     by_value
      - .address_space:  global
        .offset:         40
        .size:           8
        .value_kind:     global_buffer
      - .address_space:  global
        .offset:         48
        .size:           8
        .value_kind:     global_buffer
      - .address_space:  global
        .offset:         56
        .size:           8
        .value_kind:     global_buffer
      - .offset:         64
        .size:           4
        .value_kind:     by_value
      - .offset:         68
        .size:           4
        .value_kind:     by_value
      - .offset:         72
        .size:           4
        .value_kind:     by_value
      - .offset:         80
        .size:           4
        .value_kind:     hidden_block_count_x
      - .offset:         84
        .size:           4
        .value_kind:     hidden_block_count_y
      - .offset:         88
        .size:           4
        .value_kind:     hidden_block_count_z
      - .offset:         92
        .size:           2
        .value_kind:     hidden_group_size_x
      - .offset:         94
        .size:           2
        .value_kind:     hidden_group_size_y
      - .offset:         96
        .size:           2
        .value_kind:     hidden_group_size_z
      - .offset:         98
        .size:           2
        .value_kind:     hidden_remainder_x
      - .offset:         100
        .size:           2
        .value_kind:     hidden_remainder_y
      - .offset:         102
        .size:           2
        .value_kind:     hidden_remainder_z
      - .offset:         120
        .size:           8
        .value_kind:     hidden_global_offset_x
      - .offset:         128
        .size:           8
        .value_kind:     hidden_global_offset_y
      - .offset:         136
        .size:           8
        .value_kind:     hidden_global_offset_z
      - .offset:         144
        .size:           2
        .value_kind:     hidden_grid_dims
    .group_segment_fixed_size: 0
    .kernarg_segment_align: 8
    .kernarg_segment_size: 336
    .language:       OpenCL C
    .language_version:
      - 2
      - 0
    .max_flat_workgroup_size: 4
    .name:           _ZN9rocsolver6v33100L30stedc_mergeValues_Solve_kernelIfEEviiPT_lS3_lS3_S3_PiS2_S2_S2_
    .private_segment_fixed_size: 0
    .sgpr_count:     41
    .sgpr_spill_count: 0
    .symbol:         _ZN9rocsolver6v33100L30stedc_mergeValues_Solve_kernelIfEEviiPT_lS3_lS3_S3_PiS2_S2_S2_.kd
    .uniform_work_group_size: 1
    .uses_dynamic_stack: false
    .vgpr_count:     52
    .vgpr_spill_count: 0
    .wavefront_size: 64
  - .args:
      - .offset:         0
        .size:           4
        .value_kind:     by_value
      - .offset:         4
        .size:           4
        .value_kind:     by_value
      - .address_space:  global
        .offset:         8
        .size:           8
        .value_kind:     global_buffer
      - .offset:         16
        .size:           8
        .value_kind:     by_value
      - .address_space:  global
        .offset:         24
        .size:           8
        .value_kind:     global_buffer
      - .offset:         32
        .size:           8
        .value_kind:     by_value
      - .address_space:  global
        .offset:         40
        .size:           8
        .value_kind:     global_buffer
      - .address_space:  global
        .offset:         48
        .size:           8
        .value_kind:     global_buffer
      - .address_space:  global
        .offset:         56
        .size:           8
        .value_kind:     global_buffer
      - .offset:         64
        .size:           4
        .value_kind:     by_value
      - .offset:         68
        .size:           4
        .value_kind:     by_value
      - .offset:         72
        .size:           4
        .value_kind:     by_value
      - .offset:         80
        .size:           4
        .value_kind:     hidden_block_count_x
      - .offset:         84
        .size:           4
        .value_kind:     hidden_block_count_y
      - .offset:         88
        .size:           4
        .value_kind:     hidden_block_count_z
      - .offset:         92
        .size:           2
        .value_kind:     hidden_group_size_x
      - .offset:         94
        .size:           2
        .value_kind:     hidden_group_size_y
      - .offset:         96
        .size:           2
        .value_kind:     hidden_group_size_z
      - .offset:         98
        .size:           2
        .value_kind:     hidden_remainder_x
      - .offset:         100
        .size:           2
        .value_kind:     hidden_remainder_y
      - .offset:         102
        .size:           2
        .value_kind:     hidden_remainder_z
      - .offset:         120
        .size:           8
        .value_kind:     hidden_global_offset_x
      - .offset:         128
        .size:           8
        .value_kind:     hidden_global_offset_y
      - .offset:         136
        .size:           8
        .value_kind:     hidden_global_offset_z
      - .offset:         144
        .size:           2
        .value_kind:     hidden_grid_dims
    .group_segment_fixed_size: 2048
    .kernarg_segment_align: 8
    .kernarg_segment_size: 336
    .language:       OpenCL C
    .language_version:
      - 2
      - 0
    .max_flat_workgroup_size: 512
    .name:           _ZN9rocsolver6v33100L32stedc_mergeValues_Rescale_kernelIfEEviiPT_lS3_lS3_S3_PiS2_S2_S2_
    .private_segment_fixed_size: 0
    .sgpr_count:     30
    .sgpr_spill_count: 0
    .symbol:         _ZN9rocsolver6v33100L32stedc_mergeValues_Rescale_kernelIfEEviiPT_lS3_lS3_S3_PiS2_S2_S2_.kd
    .uniform_work_group_size: 1
    .uses_dynamic_stack: false
    .vgpr_count:     12
    .vgpr_spill_count: 0
    .wavefront_size: 64
  - .args:
      - .offset:         0
        .size:           4
        .value_kind:     by_value
      - .offset:         4
        .size:           4
        .value_kind:     by_value
      - .address_space:  global
        .offset:         8
        .size:           8
        .value_kind:     global_buffer
      - .offset:         16
        .size:           4
        .value_kind:     by_value
      - .offset:         20
        .size:           4
        .value_kind:     by_value
      - .offset:         24
        .size:           8
        .value_kind:     by_value
      - .address_space:  global
        .offset:         32
        .size:           8
        .value_kind:     global_buffer
      - .address_space:  global
        .offset:         40
        .size:           8
        .value_kind:     global_buffer
      - .address_space:  global
        .offset:         48
        .size:           8
        .value_kind:     global_buffer
      - .offset:         56
        .size:           4
        .value_kind:     hidden_block_count_x
      - .offset:         60
        .size:           4
        .value_kind:     hidden_block_count_y
      - .offset:         64
        .size:           4
        .value_kind:     hidden_block_count_z
      - .offset:         68
        .size:           2
        .value_kind:     hidden_group_size_x
      - .offset:         70
        .size:           2
        .value_kind:     hidden_group_size_y
      - .offset:         72
        .size:           2
        .value_kind:     hidden_group_size_z
      - .offset:         74
        .size:           2
        .value_kind:     hidden_remainder_x
      - .offset:         76
        .size:           2
        .value_kind:     hidden_remainder_y
      - .offset:         78
        .size:           2
        .value_kind:     hidden_remainder_z
      - .offset:         96
        .size:           8
        .value_kind:     hidden_global_offset_x
      - .offset:         104
        .size:           8
        .value_kind:     hidden_global_offset_y
      - .offset:         112
        .size:           8
        .value_kind:     hidden_global_offset_z
      - .offset:         120
        .size:           2
        .value_kind:     hidden_grid_dims
    .group_segment_fixed_size: 2048
    .kernarg_segment_align: 8
    .kernarg_segment_size: 312
    .language:       OpenCL C
    .language_version:
      - 2
      - 0
    .max_flat_workgroup_size: 512
    .name:           _ZN9rocsolver6v33100L25stedc_mergeVectors_kernelILb1EfEEviiPT0_iilS3_S3_Pi
    .private_segment_fixed_size: 0
    .sgpr_count:     29
    .sgpr_spill_count: 0
    .symbol:         _ZN9rocsolver6v33100L25stedc_mergeVectors_kernelILb1EfEEviiPT0_iilS3_S3_Pi.kd
    .uniform_work_group_size: 1
    .uses_dynamic_stack: false
    .vgpr_count:     17
    .vgpr_spill_count: 0
    .wavefront_size: 64
  - .args:
      - .offset:         0
        .size:           4
        .value_kind:     by_value
      - .offset:         4
        .size:           4
        .value_kind:     by_value
      - .address_space:  global
        .offset:         8
        .size:           8
        .value_kind:     global_buffer
      - .offset:         16
        .size:           8
        .value_kind:     by_value
      - .address_space:  global
        .offset:         24
        .size:           8
        .value_kind:     global_buffer
      - .offset:         32
        .size:           4
        .value_kind:     by_value
      - .offset:         36
        .size:           4
        .value_kind:     by_value
      - .offset:         40
        .size:           8
        .value_kind:     by_value
      - .address_space:  global
        .offset:         48
        .size:           8
        .value_kind:     global_buffer
      - .address_space:  global
        .offset:         56
        .size:           8
        .value_kind:     global_buffer
      - .address_space:  global
        .offset:         64
        .size:           8
        .value_kind:     global_buffer
      - .offset:         72
        .size:           4
        .value_kind:     hidden_block_count_x
      - .offset:         76
        .size:           4
        .value_kind:     hidden_block_count_y
      - .offset:         80
        .size:           4
        .value_kind:     hidden_block_count_z
      - .offset:         84
        .size:           2
        .value_kind:     hidden_group_size_x
      - .offset:         86
        .size:           2
        .value_kind:     hidden_group_size_y
      - .offset:         88
        .size:           2
        .value_kind:     hidden_group_size_z
      - .offset:         90
        .size:           2
        .value_kind:     hidden_remainder_x
      - .offset:         92
        .size:           2
        .value_kind:     hidden_remainder_y
      - .offset:         94
        .size:           2
        .value_kind:     hidden_remainder_z
      - .offset:         112
        .size:           8
        .value_kind:     hidden_global_offset_x
      - .offset:         120
        .size:           8
        .value_kind:     hidden_global_offset_y
      - .offset:         128
        .size:           8
        .value_kind:     hidden_global_offset_z
      - .offset:         136
        .size:           2
        .value_kind:     hidden_grid_dims
    .group_segment_fixed_size: 0
    .kernarg_segment_align: 8
    .kernarg_segment_size: 328
    .language:       OpenCL C
    .language_version:
      - 2
      - 0
    .max_flat_workgroup_size: 512
    .name:           _ZN9rocsolver6v33100L24stedc_mergeUpdate_kernelIfEEviiPT_lS3_iilS3_S3_Pi
    .private_segment_fixed_size: 0
    .sgpr_count:     33
    .sgpr_spill_count: 0
    .symbol:         _ZN9rocsolver6v33100L24stedc_mergeUpdate_kernelIfEEviiPT_lS3_iilS3_S3_Pi.kd
    .uniform_work_group_size: 1
    .uses_dynamic_stack: false
    .vgpr_count:     6
    .vgpr_spill_count: 0
    .wavefront_size: 64
  - .args:
      - .offset:         0
        .size:           4
        .value_kind:     by_value
      - .offset:         4
        .size:           4
        .value_kind:     by_value
      - .offset:         8
        .size:           4
        .value_kind:     by_value
      - .address_space:  global
        .offset:         16
        .size:           8
        .value_kind:     global_buffer
      - .offset:         24
        .size:           4
        .value_kind:     by_value
      - .offset:         28
        .size:           4
        .value_kind:     by_value
      - .offset:         32
        .size:           8
        .value_kind:     by_value
      - .address_space:  global
        .offset:         40
        .size:           8
        .value_kind:     global_buffer
      - .offset:         48
        .size:           1
        .value_kind:     by_value
      - .offset:         52
        .size:           4
        .value_kind:     by_value
      - .offset:         56
        .size:           4
        .value_kind:     by_value
      - .offset:         64
        .size:           4
        .value_kind:     hidden_block_count_x
      - .offset:         68
        .size:           4
        .value_kind:     hidden_block_count_y
      - .offset:         72
        .size:           4
        .value_kind:     hidden_block_count_z
      - .offset:         76
        .size:           2
        .value_kind:     hidden_group_size_x
      - .offset:         78
        .size:           2
        .value_kind:     hidden_group_size_y
      - .offset:         80
        .size:           2
        .value_kind:     hidden_group_size_z
      - .offset:         82
        .size:           2
        .value_kind:     hidden_remainder_x
      - .offset:         84
        .size:           2
        .value_kind:     hidden_remainder_y
      - .offset:         86
        .size:           2
        .value_kind:     hidden_remainder_z
      - .offset:         104
        .size:           8
        .value_kind:     hidden_global_offset_x
      - .offset:         112
        .size:           8
        .value_kind:     hidden_global_offset_y
      - .offset:         120
        .size:           8
        .value_kind:     hidden_global_offset_z
      - .offset:         128
        .size:           2
        .value_kind:     hidden_grid_dims
    .group_segment_fixed_size: 0
    .kernarg_segment_align: 8
    .kernarg_segment_size: 320
    .language:       OpenCL C
    .language_version:
      - 2
      - 0
    .max_flat_workgroup_size: 1024
    .name:           _ZN9rocsolver6v33100L8copy_matIfPfNS0_7no_maskEEEvNS0_17copymat_directionEiiT0_iilPT_T1_13rocblas_fill_17rocblas_diagonal_
    .private_segment_fixed_size: 0
    .sgpr_count:     28
    .sgpr_spill_count: 0
    .symbol:         _ZN9rocsolver6v33100L8copy_matIfPfNS0_7no_maskEEEvNS0_17copymat_directionEiiT0_iilPT_T1_13rocblas_fill_17rocblas_diagonal_.kd
    .uniform_work_group_size: 1
    .uses_dynamic_stack: false
    .vgpr_count:     6
    .vgpr_spill_count: 0
    .wavefront_size: 64
  - .args:
      - .offset:         0
        .size:           4
        .value_kind:     by_value
      - .address_space:  global
        .offset:         8
        .size:           8
        .value_kind:     global_buffer
      - .offset:         16
        .size:           8
        .value_kind:     by_value
      - .address_space:  global
        .offset:         24
        .size:           8
        .value_kind:     global_buffer
      - .offset:         32
        .size:           8
        .value_kind:     by_value
      - .offset:         40
        .size:           4
        .value_kind:     hidden_block_count_x
      - .offset:         44
        .size:           4
        .value_kind:     hidden_block_count_y
      - .offset:         48
        .size:           4
        .value_kind:     hidden_block_count_z
      - .offset:         52
        .size:           2
        .value_kind:     hidden_group_size_x
      - .offset:         54
        .size:           2
        .value_kind:     hidden_group_size_y
      - .offset:         56
        .size:           2
        .value_kind:     hidden_group_size_z
      - .offset:         58
        .size:           2
        .value_kind:     hidden_remainder_x
      - .offset:         60
        .size:           2
        .value_kind:     hidden_remainder_y
      - .offset:         62
        .size:           2
        .value_kind:     hidden_remainder_z
      - .offset:         80
        .size:           8
        .value_kind:     hidden_global_offset_x
      - .offset:         88
        .size:           8
        .value_kind:     hidden_global_offset_y
      - .offset:         96
        .size:           8
        .value_kind:     hidden_global_offset_z
      - .offset:         104
        .size:           2
        .value_kind:     hidden_grid_dims
    .group_segment_fixed_size: 0
    .kernarg_segment_align: 8
    .kernarg_segment_size: 296
    .language:       OpenCL C
    .language_version:
      - 2
      - 0
    .max_flat_workgroup_size: 512
    .name:           _ZN9rocsolver6v33100L11stedc_copyDIfEEviPT_lS3_l
    .private_segment_fixed_size: 0
    .sgpr_count:     61
    .sgpr_spill_count: 0
    .symbol:         _ZN9rocsolver6v33100L11stedc_copyDIfEEviPT_lS3_l.kd
    .uniform_work_group_size: 1
    .uses_dynamic_stack: false
    .vgpr_count:     50
    .vgpr_spill_count: 0
    .wavefront_size: 64
  - .args:
      - .offset:         0
        .size:           4
        .value_kind:     by_value
      - .address_space:  global
        .offset:         8
        .size:           8
        .value_kind:     global_buffer
      - .offset:         16
        .size:           8
        .value_kind:     by_value
      - .address_space:  global
        .offset:         24
        .size:           8
        .value_kind:     global_buffer
      - .offset:         32
        .size:           8
        .value_kind:     by_value
      - .address_space:  global
        .offset:         40
        .size:           8
        .value_kind:     global_buffer
      - .offset:         48
        .size:           4
        .value_kind:     by_value
      - .offset:         52
        .size:           4
        .value_kind:     by_value
      - .offset:         56
        .size:           8
        .value_kind:     by_value
      - .address_space:  global
        .offset:         64
        .size:           8
        .value_kind:     global_buffer
      - .offset:         72
        .size:           4
        .value_kind:     by_value
      - .offset:         76
        .size:           4
        .value_kind:     by_value
      - .offset:         80
        .size:           8
        .value_kind:     by_value
      - .offset:         88
        .size:           4
        .value_kind:     hidden_block_count_x
      - .offset:         92
        .size:           4
        .value_kind:     hidden_block_count_y
      - .offset:         96
        .size:           4
        .value_kind:     hidden_block_count_z
      - .offset:         100
        .size:           2
        .value_kind:     hidden_group_size_x
      - .offset:         102
        .size:           2
        .value_kind:     hidden_group_size_y
      - .offset:         104
        .size:           2
        .value_kind:     hidden_group_size_z
      - .offset:         106
        .size:           2
        .value_kind:     hidden_remainder_x
      - .offset:         108
        .size:           2
        .value_kind:     hidden_remainder_y
      - .offset:         110
        .size:           2
        .value_kind:     hidden_remainder_z
      - .offset:         128
        .size:           8
        .value_kind:     hidden_global_offset_x
      - .offset:         136
        .size:           8
        .value_kind:     hidden_global_offset_y
      - .offset:         144
        .size:           8
        .value_kind:     hidden_global_offset_z
      - .offset:         152
        .size:           2
        .value_kind:     hidden_grid_dims
    .group_segment_fixed_size: 2048
    .kernarg_segment_align: 8
    .kernarg_segment_size: 344
    .language:       OpenCL C
    .language_version:
      - 2
      - 0
    .max_flat_workgroup_size: 512
    .name:           _ZN9rocsolver6v33100L10stedc_sortIffPfS2_EEviPT0_lS4_lT1_iilT2_iil
    .private_segment_fixed_size: 0
    .sgpr_count:     76
    .sgpr_spill_count: 0
    .symbol:         _ZN9rocsolver6v33100L10stedc_sortIffPfS2_EEviPT0_lS4_lT1_iilT2_iil.kd
    .uniform_work_group_size: 1
    .uses_dynamic_stack: false
    .vgpr_count:     50
    .vgpr_spill_count: 0
    .wavefront_size: 64
  - .args:
      - .address_space:  global
        .offset:         0
        .size:           8
        .value_kind:     global_buffer
      - .offset:         8
        .size:           8
        .value_kind:     by_value
      - .offset:         16
        .size:           4
        .value_kind:     by_value
      - .offset:         20
        .size:           4
        .value_kind:     by_value
      - .offset:         24
        .size:           4
        .value_kind:     hidden_block_count_x
      - .offset:         28
        .size:           4
        .value_kind:     hidden_block_count_y
      - .offset:         32
        .size:           4
        .value_kind:     hidden_block_count_z
      - .offset:         36
        .size:           2
        .value_kind:     hidden_group_size_x
      - .offset:         38
        .size:           2
        .value_kind:     hidden_group_size_y
      - .offset:         40
        .size:           2
        .value_kind:     hidden_group_size_z
      - .offset:         42
        .size:           2
        .value_kind:     hidden_remainder_x
      - .offset:         44
        .size:           2
        .value_kind:     hidden_remainder_y
      - .offset:         46
        .size:           2
        .value_kind:     hidden_remainder_z
      - .offset:         64
        .size:           8
        .value_kind:     hidden_global_offset_x
      - .offset:         72
        .size:           8
        .value_kind:     hidden_global_offset_y
      - .offset:         80
        .size:           8
        .value_kind:     hidden_global_offset_z
      - .offset:         88
        .size:           2
        .value_kind:     hidden_grid_dims
    .group_segment_fixed_size: 0
    .kernarg_segment_align: 8
    .kernarg_segment_size: 280
    .language:       OpenCL C
    .language_version:
      - 2
      - 0
    .max_flat_workgroup_size: 1024
    .name:           _ZN9rocsolver6v33100L16reset_batch_infoIdiiPdEEvT2_lT0_T1_
    .private_segment_fixed_size: 0
    .sgpr_count:     16
    .sgpr_spill_count: 0
    .symbol:         _ZN9rocsolver6v33100L16reset_batch_infoIdiiPdEEvT2_lT0_T1_.kd
    .uniform_work_group_size: 1
    .uses_dynamic_stack: false
    .vgpr_count:     5
    .vgpr_spill_count: 0
    .wavefront_size: 64
  - .args:
      - .offset:         0
        .size:           4
        .value_kind:     by_value
      - .address_space:  global
        .offset:         8
        .size:           8
        .value_kind:     global_buffer
      - .offset:         16
        .size:           8
        .value_kind:     by_value
      - .address_space:  global
        .offset:         24
        .size:           8
        .value_kind:     global_buffer
      - .offset:         32
        .size:           8
        .value_kind:     by_value
      - .address_space:  global
        .offset:         40
        .size:           8
        .value_kind:     global_buffer
      - .address_space:  global
        .offset:         48
        .size:           8
        .value_kind:     global_buffer
      - .offset:         56
        .size:           4
        .value_kind:     by_value
      - .offset:         64
        .size:           8
        .value_kind:     by_value
      - .offset:         72
        .size:           8
        .value_kind:     by_value
      - .offset:         80
        .size:           8
        .value_kind:     by_value
    .group_segment_fixed_size: 0
    .kernarg_segment_align: 8
    .kernarg_segment_size: 88
    .language:       OpenCL C
    .language_version:
      - 2
      - 0
    .max_flat_workgroup_size: 1024
    .name:           _ZN9rocsolver6v33100L12sterf_kernelIdEEviPT_lS3_lPiS4_iS2_S2_S2_
    .private_segment_fixed_size: 0
    .sgpr_count:     78
    .sgpr_spill_count: 0
    .symbol:         _ZN9rocsolver6v33100L12sterf_kernelIdEEviPT_lS3_lPiS4_iS2_S2_S2_.kd
    .uniform_work_group_size: 1
    .uses_dynamic_stack: false
    .vgpr_count:     31
    .vgpr_spill_count: 0
    .wavefront_size: 64
  - .args:
      - .offset:         0
        .size:           4
        .value_kind:     by_value
      - .offset:         4
        .size:           4
        .value_kind:     by_value
      - .offset:         8
        .size:           4
        .value_kind:     by_value
      - .offset:         12
        .size:           4
        .value_kind:     by_value
      - .offset:         16
        .size:           4
        .value_kind:     by_value
      - .address_space:  global
        .offset:         24
        .size:           8
        .value_kind:     global_buffer
      - .offset:         32
        .size:           8
        .value_kind:     by_value
      - .address_space:  global
        .offset:         40
        .size:           8
        .value_kind:     global_buffer
      - .offset:         48
        .size:           8
        .value_kind:     by_value
      - .address_space:  global
        .offset:         56
        .size:           8
        .value_kind:     global_buffer
      - .offset:         64
        .size:           8
        .value_kind:     by_value
      - .offset:         72
        .size:           4
        .value_kind:     by_value
      - .offset:         80
        .size:           8
        .value_kind:     by_value
      - .offset:         88
        .size:           4
        .value_kind:     by_value
      - .offset:         96
        .size:           4
        .value_kind:     hidden_block_count_x
      - .offset:         100
        .size:           4
        .value_kind:     hidden_block_count_y
      - .offset:         104
        .size:           4
        .value_kind:     hidden_block_count_z
      - .offset:         108
        .size:           2
        .value_kind:     hidden_group_size_x
      - .offset:         110
        .size:           2
        .value_kind:     hidden_group_size_y
      - .offset:         112
        .size:           2
        .value_kind:     hidden_group_size_z
      - .offset:         114
        .size:           2
        .value_kind:     hidden_remainder_x
      - .offset:         116
        .size:           2
        .value_kind:     hidden_remainder_y
      - .offset:         118
        .size:           2
        .value_kind:     hidden_remainder_z
      - .offset:         136
        .size:           8
        .value_kind:     hidden_global_offset_x
      - .offset:         144
        .size:           8
        .value_kind:     hidden_global_offset_y
      - .offset:         152
        .size:           8
        .value_kind:     hidden_global_offset_z
      - .offset:         160
        .size:           2
        .value_kind:     hidden_grid_dims
    .group_segment_fixed_size: 0
    .kernarg_segment_align: 8
    .kernarg_segment_size: 352
    .language:       OpenCL C
    .language_version:
      - 2
      - 0
    .max_flat_workgroup_size: 64
    .name:           _ZN9rocsolver6v33100L11lasr_kernelIddPdiEEv13rocblas_side_14rocblas_pivot_15rocblas_direct_T2_S6_PT0_lS8_lT1_lS6_lS6_
    .private_segment_fixed_size: 0
    .sgpr_count:     100
    .sgpr_spill_count: 11
    .symbol:         _ZN9rocsolver6v33100L11lasr_kernelIddPdiEEv13rocblas_side_14rocblas_pivot_15rocblas_direct_T2_S6_PT0_lS8_lT1_lS6_lS6_.kd
    .uniform_work_group_size: 1
    .uses_dynamic_stack: false
    .vgpr_count:     46
    .vgpr_spill_count: 0
    .wavefront_size: 64
  - .args:
      - .offset:         0
        .size:           4
        .value_kind:     by_value
      - .address_space:  global
        .offset:         8
        .size:           8
        .value_kind:     global_buffer
      - .offset:         16
        .size:           4
        .value_kind:     by_value
      - .address_space:  global
        .offset:         24
        .size:           8
        .value_kind:     global_buffer
      - .offset:         32
        .size:           4
        .value_kind:     by_value
      - .offset:         40
        .size:           4
        .value_kind:     hidden_block_count_x
      - .offset:         44
        .size:           4
        .value_kind:     hidden_block_count_y
      - .offset:         48
        .size:           4
        .value_kind:     hidden_block_count_z
      - .offset:         52
        .size:           2
        .value_kind:     hidden_group_size_x
      - .offset:         54
        .size:           2
        .value_kind:     hidden_group_size_y
      - .offset:         56
        .size:           2
        .value_kind:     hidden_group_size_z
      - .offset:         58
        .size:           2
        .value_kind:     hidden_remainder_x
      - .offset:         60
        .size:           2
        .value_kind:     hidden_remainder_y
      - .offset:         62
        .size:           2
        .value_kind:     hidden_remainder_z
      - .offset:         80
        .size:           8
        .value_kind:     hidden_global_offset_x
      - .offset:         88
        .size:           8
        .value_kind:     hidden_global_offset_y
      - .offset:         96
        .size:           8
        .value_kind:     hidden_global_offset_z
      - .offset:         104
        .size:           2
        .value_kind:     hidden_grid_dims
    .group_segment_fixed_size: 0
    .kernarg_segment_align: 8
    .kernarg_segment_size: 296
    .language:       OpenCL C
    .language_version:
      - 2
      - 0
    .max_flat_workgroup_size: 1024
    .name:           _ZN9rocsolver6v33100L11swap_kernelIdiEEvT0_PT_S2_S4_S2_
    .private_segment_fixed_size: 0
    .sgpr_count:     21
    .sgpr_spill_count: 0
    .symbol:         _ZN9rocsolver6v33100L11swap_kernelIdiEEvT0_PT_S2_S4_S2_.kd
    .uniform_work_group_size: 1
    .uses_dynamic_stack: false
    .vgpr_count:     14
    .vgpr_spill_count: 0
    .wavefront_size: 64
  - .args:
      - .offset:         0
        .size:           4
        .value_kind:     by_value
      - .address_space:  global
        .offset:         8
        .size:           8
        .value_kind:     global_buffer
      - .offset:         16
        .size:           8
        .value_kind:     by_value
      - .address_space:  global
        .offset:         24
        .size:           8
        .value_kind:     global_buffer
      - .offset:         32
        .size:           8
        .value_kind:     by_value
      - .address_space:  global
        .offset:         40
        .size:           8
        .value_kind:     global_buffer
      - .offset:         48
        .size:           4
        .value_kind:     by_value
      - .offset:         52
        .size:           4
        .value_kind:     by_value
      - .offset:         56
        .size:           8
        .value_kind:     by_value
      - .address_space:  global
        .offset:         64
        .size:           8
        .value_kind:     global_buffer
      - .address_space:  global
        .offset:         72
        .size:           8
        .value_kind:     global_buffer
      - .offset:         80
        .size:           4
        .value_kind:     by_value
      - .offset:         88
        .size:           8
        .value_kind:     by_value
      - .offset:         96
        .size:           8
        .value_kind:     by_value
      - .offset:         104
        .size:           8
        .value_kind:     by_value
      - .offset:         112
        .size:           4
        .value_kind:     hidden_block_count_x
      - .offset:         116
        .size:           4
        .value_kind:     hidden_block_count_y
      - .offset:         120
        .size:           4
        .value_kind:     hidden_block_count_z
      - .offset:         124
        .size:           2
        .value_kind:     hidden_group_size_x
      - .offset:         126
        .size:           2
        .value_kind:     hidden_group_size_y
      - .offset:         128
        .size:           2
        .value_kind:     hidden_group_size_z
      - .offset:         130
        .size:           2
        .value_kind:     hidden_remainder_x
      - .offset:         132
        .size:           2
        .value_kind:     hidden_remainder_y
      - .offset:         134
        .size:           2
        .value_kind:     hidden_remainder_z
      - .offset:         152
        .size:           8
        .value_kind:     hidden_global_offset_x
      - .offset:         160
        .size:           8
        .value_kind:     hidden_global_offset_y
      - .offset:         168
        .size:           8
        .value_kind:     hidden_global_offset_z
      - .offset:         176
        .size:           2
        .value_kind:     hidden_grid_dims
    .group_segment_fixed_size: 48
    .kernarg_segment_align: 8
    .kernarg_segment_size: 368
    .language:       OpenCL C
    .language_version:
      - 2
      - 0
    .max_flat_workgroup_size: 1024
    .name:           _ZN9rocsolver6v33100L12steqr_kernelIddPdEEviPT0_lS4_lT1_iilPiS4_iS3_S3_S3_
    .private_segment_fixed_size: 244
    .sgpr_count:     82
    .sgpr_spill_count: 0
    .symbol:         _ZN9rocsolver6v33100L12steqr_kernelIddPdEEviPT0_lS4_lT1_iilPiS4_iS3_S3_S3_.kd
    .uniform_work_group_size: 1
    .uses_dynamic_stack: false
    .vgpr_count:     64
    .vgpr_spill_count: 0
    .wavefront_size: 64
  - .args:
      - .offset:         0
        .size:           4
        .value_kind:     by_value
      - .offset:         4
        .size:           4
        .value_kind:     by_value
      - .address_space:  global
        .offset:         8
        .size:           8
        .value_kind:     global_buffer
      - .offset:         16
        .size:           4
        .value_kind:     by_value
      - .offset:         20
        .size:           4
        .value_kind:     by_value
      - .offset:         24
        .size:           8
        .value_kind:     by_value
      - .offset:         32
        .size:           4
        .value_kind:     hidden_block_count_x
      - .offset:         36
        .size:           4
        .value_kind:     hidden_block_count_y
      - .offset:         40
        .size:           4
        .value_kind:     hidden_block_count_z
      - .offset:         44
        .size:           2
        .value_kind:     hidden_group_size_x
      - .offset:         46
        .size:           2
        .value_kind:     hidden_group_size_y
      - .offset:         48
        .size:           2
        .value_kind:     hidden_group_size_z
      - .offset:         50
        .size:           2
        .value_kind:     hidden_remainder_x
      - .offset:         52
        .size:           2
        .value_kind:     hidden_remainder_y
      - .offset:         54
        .size:           2
        .value_kind:     hidden_remainder_z
      - .offset:         72
        .size:           8
        .value_kind:     hidden_global_offset_x
      - .offset:         80
        .size:           8
        .value_kind:     hidden_global_offset_y
      - .offset:         88
        .size:           8
        .value_kind:     hidden_global_offset_z
      - .offset:         96
        .size:           2
        .value_kind:     hidden_grid_dims
    .group_segment_fixed_size: 0
    .kernarg_segment_align: 8
    .kernarg_segment_size: 288
    .language:       OpenCL C
    .language_version:
      - 2
      - 0
    .max_flat_workgroup_size: 1024
    .name:           _ZN9rocsolver6v33100L10init_identIdPdEEviiT0_iil
    .private_segment_fixed_size: 0
    .sgpr_count:     13
    .sgpr_spill_count: 0
    .symbol:         _ZN9rocsolver6v33100L10init_identIdPdEEviiT0_iil.kd
    .uniform_work_group_size: 1
    .uses_dynamic_stack: false
    .vgpr_count:     6
    .vgpr_spill_count: 0
    .wavefront_size: 64
  - .args:
      - .offset:         0
        .size:           4
        .value_kind:     by_value
      - .offset:         4
        .size:           4
        .value_kind:     by_value
      - .offset:         8
        .size:           4
        .value_kind:     by_value
      - .address_space:  global
        .offset:         16
        .size:           8
        .value_kind:     global_buffer
      - .offset:         24
        .size:           8
        .value_kind:     by_value
      - .address_space:  global
        .offset:         32
        .size:           8
        .value_kind:     global_buffer
      - .offset:         40
        .size:           8
        .value_kind:     by_value
      - .offset:         48
        .size:           4
        .value_kind:     by_value
      - .address_space:  global
        .offset:         56
        .size:           8
        .value_kind:     global_buffer
      - .offset:         64
        .size:           4
        .value_kind:     hidden_block_count_x
      - .offset:         68
        .size:           4
        .value_kind:     hidden_block_count_y
      - .offset:         72
        .size:           4
        .value_kind:     hidden_block_count_z
      - .offset:         76
        .size:           2
        .value_kind:     hidden_group_size_x
      - .offset:         78
        .size:           2
        .value_kind:     hidden_group_size_y
      - .offset:         80
        .size:           2
        .value_kind:     hidden_group_size_z
      - .offset:         82
        .size:           2
        .value_kind:     hidden_remainder_x
      - .offset:         84
        .size:           2
        .value_kind:     hidden_remainder_y
      - .offset:         86
        .size:           2
        .value_kind:     hidden_remainder_z
      - .offset:         104
        .size:           8
        .value_kind:     hidden_global_offset_x
      - .offset:         112
        .size:           8
        .value_kind:     hidden_global_offset_y
      - .offset:         120
        .size:           8
        .value_kind:     hidden_global_offset_z
      - .offset:         128
        .size:           2
        .value_kind:     hidden_grid_dims
    .group_segment_fixed_size: 0
    .kernarg_segment_align: 8
    .kernarg_segment_size: 320
    .language:       OpenCL C
    .language_version:
      - 2
      - 0
    .max_flat_workgroup_size: 512
    .name:           _ZN9rocsolver6v33100L19stedc_divide_kernelIdEEviiiPT_lS3_liPi
    .private_segment_fixed_size: 0
    .sgpr_count:     24
    .sgpr_spill_count: 0
    .symbol:         _ZN9rocsolver6v33100L19stedc_divide_kernelIdEEviiiPT_lS3_liPi.kd
    .uniform_work_group_size: 1
    .uses_dynamic_stack: false
    .vgpr_count:     19
    .vgpr_spill_count: 0
    .wavefront_size: 64
  - .args:
      - .offset:         0
        .size:           4
        .value_kind:     by_value
      - .offset:         4
        .size:           4
        .value_kind:     by_value
      - .address_space:  global
        .offset:         8
        .size:           8
        .value_kind:     global_buffer
      - .offset:         16
        .size:           8
        .value_kind:     by_value
      - .address_space:  global
        .offset:         24
        .size:           8
        .value_kind:     global_buffer
      - .offset:         32
        .size:           8
        .value_kind:     by_value
      - .address_space:  global
        .offset:         40
        .size:           8
        .value_kind:     global_buffer
      - .offset:         48
        .size:           4
        .value_kind:     by_value
      - .offset:         52
        .size:           4
        .value_kind:     by_value
      - .offset:         56
        .size:           8
        .value_kind:     by_value
      - .address_space:  global
        .offset:         64
        .size:           8
        .value_kind:     global_buffer
      - .address_space:  global
        .offset:         72
        .size:           8
        .value_kind:     global_buffer
      - .address_space:  global
        .offset:         80
        .size:           8
        .value_kind:     global_buffer
      - .offset:         88
        .size:           8
        .value_kind:     by_value
      - .offset:         96
        .size:           8
        .value_kind:     by_value
      - .offset:         104
        .size:           8
        .value_kind:     by_value
      - .offset:         112
        .size:           4
        .value_kind:     hidden_block_count_x
      - .offset:         116
        .size:           4
        .value_kind:     hidden_block_count_y
      - .offset:         120
        .size:           4
        .value_kind:     hidden_block_count_z
      - .offset:         124
        .size:           2
        .value_kind:     hidden_group_size_x
      - .offset:         126
        .size:           2
        .value_kind:     hidden_group_size_y
      - .offset:         128
        .size:           2
        .value_kind:     hidden_group_size_z
      - .offset:         130
        .size:           2
        .value_kind:     hidden_remainder_x
      - .offset:         132
        .size:           2
        .value_kind:     hidden_remainder_y
      - .offset:         134
        .size:           2
        .value_kind:     hidden_remainder_z
      - .offset:         152
        .size:           8
        .value_kind:     hidden_global_offset_x
      - .offset:         160
        .size:           8
        .value_kind:     hidden_global_offset_y
      - .offset:         168
        .size:           8
        .value_kind:     hidden_global_offset_z
      - .offset:         176
        .size:           2
        .value_kind:     hidden_grid_dims
    .group_segment_fixed_size: 48
    .kernarg_segment_align: 8
    .kernarg_segment_size: 368
    .language:       OpenCL C
    .language_version:
      - 2
      - 0
    .max_flat_workgroup_size: 512
    .name:           _ZN9rocsolver6v33100L18stedc_solve_kernelIdEEviiPT_lS3_lS3_iilPiS3_S4_S2_S2_S2_
    .private_segment_fixed_size: 244
    .sgpr_count:     82
    .sgpr_spill_count: 0
    .symbol:         _ZN9rocsolver6v33100L18stedc_solve_kernelIdEEviiPT_lS3_lS3_iilPiS3_S4_S2_S2_S2_.kd
    .uniform_work_group_size: 1
    .uses_dynamic_stack: false
    .vgpr_count:     64
    .vgpr_spill_count: 0
    .wavefront_size: 64
  - .args:
      - .offset:         0
        .size:           4
        .value_kind:     by_value
      - .offset:         4
        .size:           4
        .value_kind:     by_value
      - .address_space:  global
        .offset:         8
        .size:           8
        .value_kind:     global_buffer
      - .offset:         16
        .size:           8
        .value_kind:     by_value
      - .address_space:  global
        .offset:         24
        .size:           8
        .value_kind:     global_buffer
      - .offset:         32
        .size:           8
        .value_kind:     by_value
      - .address_space:  global
        .offset:         40
        .size:           8
        .value_kind:     global_buffer
      - .offset:         48
        .size:           4
        .value_kind:     by_value
      - .offset:         52
        .size:           4
        .value_kind:     by_value
      - .offset:         56
        .size:           8
        .value_kind:     by_value
      - .address_space:  global
        .offset:         64
        .size:           8
        .value_kind:     global_buffer
      - .address_space:  global
        .offset:         72
        .size:           8
        .value_kind:     global_buffer
      - .offset:         80
        .size:           8
        .value_kind:     by_value
      - .offset:         88
        .size:           4
        .value_kind:     hidden_block_count_x
      - .offset:         92
        .size:           4
        .value_kind:     hidden_block_count_y
      - .offset:         96
        .size:           4
        .value_kind:     hidden_block_count_z
      - .offset:         100
        .size:           2
        .value_kind:     hidden_group_size_x
      - .offset:         102
        .size:           2
        .value_kind:     hidden_group_size_y
      - .offset:         104
        .size:           2
        .value_kind:     hidden_group_size_z
      - .offset:         106
        .size:           2
        .value_kind:     hidden_remainder_x
      - .offset:         108
        .size:           2
        .value_kind:     hidden_remainder_y
      - .offset:         110
        .size:           2
        .value_kind:     hidden_remainder_z
      - .offset:         128
        .size:           8
        .value_kind:     hidden_global_offset_x
      - .offset:         136
        .size:           8
        .value_kind:     hidden_global_offset_y
      - .offset:         144
        .size:           8
        .value_kind:     hidden_global_offset_z
      - .offset:         152
        .size:           2
        .value_kind:     hidden_grid_dims
    .group_segment_fixed_size: 8192
    .kernarg_segment_align: 8
    .kernarg_segment_size: 344
    .language:       OpenCL C
    .language_version:
      - 2
      - 0
    .max_flat_workgroup_size: 512
    .name:           _ZN9rocsolver6v33100L37stedc_mergePrepare_DeflateZero_kernelIdEEviiPT_lS3_lS3_iilS3_PiS2_
    .private_segment_fixed_size: 0
    .sgpr_count:     46
    .sgpr_spill_count: 0
    .symbol:         _ZN9rocsolver6v33100L37stedc_mergePrepare_DeflateZero_kernelIdEEviiPT_lS3_lS3_iilS3_PiS2_.kd
    .uniform_work_group_size: 1
    .uses_dynamic_stack: false
    .vgpr_count:     20
    .vgpr_spill_count: 0
    .wavefront_size: 64
  - .args:
      - .offset:         0
        .size:           4
        .value_kind:     by_value
      - .offset:         4
        .size:           4
        .value_kind:     by_value
      - .address_space:  global
        .offset:         8
        .size:           8
        .value_kind:     global_buffer
      - .offset:         16
        .size:           8
        .value_kind:     by_value
      - .address_space:  global
        .offset:         24
        .size:           8
        .value_kind:     global_buffer
      - .address_space:  global
        .offset:         32
        .size:           8
        .value_kind:     global_buffer
      - .offset:         40
        .size:           4
        .value_kind:     hidden_block_count_x
      - .offset:         44
        .size:           4
        .value_kind:     hidden_block_count_y
      - .offset:         48
        .size:           4
        .value_kind:     hidden_block_count_z
      - .offset:         52
        .size:           2
        .value_kind:     hidden_group_size_x
      - .offset:         54
        .size:           2
        .value_kind:     hidden_group_size_y
      - .offset:         56
        .size:           2
        .value_kind:     hidden_group_size_z
      - .offset:         58
        .size:           2
        .value_kind:     hidden_remainder_x
      - .offset:         60
        .size:           2
        .value_kind:     hidden_remainder_y
      - .offset:         62
        .size:           2
        .value_kind:     hidden_remainder_z
      - .offset:         80
        .size:           8
        .value_kind:     hidden_global_offset_x
      - .offset:         88
        .size:           8
        .value_kind:     hidden_global_offset_y
      - .offset:         96
        .size:           8
        .value_kind:     hidden_global_offset_z
      - .offset:         104
        .size:           2
        .value_kind:     hidden_grid_dims
    .group_segment_fixed_size: 4096
    .kernarg_segment_align: 8
    .kernarg_segment_size: 296
    .language:       OpenCL C
    .language_version:
      - 2
      - 0
    .max_flat_workgroup_size: 512
    .name:           _ZN9rocsolver6v33100L31stedc_mergePrepare_SortD_kernelIdEEviiPT_lS3_Pi
    .private_segment_fixed_size: 0
    .sgpr_count:     57
    .sgpr_spill_count: 0
    .symbol:         _ZN9rocsolver6v33100L31stedc_mergePrepare_SortD_kernelIdEEviiPT_lS3_Pi.kd
    .uniform_work_group_size: 1
    .uses_dynamic_stack: false
    .vgpr_count:     50
    .vgpr_spill_count: 0
    .wavefront_size: 64
  - .args:
      - .offset:         0
        .size:           4
        .value_kind:     by_value
      - .offset:         4
        .size:           4
        .value_kind:     by_value
      - .address_space:  global
        .offset:         8
        .size:           8
        .value_kind:     global_buffer
      - .offset:         16
        .size:           8
        .value_kind:     by_value
      - .address_space:  global
        .offset:         24
        .size:           8
        .value_kind:     global_buffer
      - .address_space:  global
        .offset:         32
        .size:           8
        .value_kind:     global_buffer
      - .offset:         40
        .size:           4
        .value_kind:     hidden_block_count_x
      - .offset:         44
        .size:           4
        .value_kind:     hidden_block_count_y
      - .offset:         48
        .size:           4
        .value_kind:     hidden_block_count_z
      - .offset:         52
        .size:           2
        .value_kind:     hidden_group_size_x
      - .offset:         54
        .size:           2
        .value_kind:     hidden_group_size_y
      - .offset:         56
        .size:           2
        .value_kind:     hidden_group_size_z
      - .offset:         58
        .size:           2
        .value_kind:     hidden_remainder_x
      - .offset:         60
        .size:           2
        .value_kind:     hidden_remainder_y
      - .offset:         62
        .size:           2
        .value_kind:     hidden_remainder_z
      - .offset:         80
        .size:           8
        .value_kind:     hidden_global_offset_x
      - .offset:         88
        .size:           8
        .value_kind:     hidden_global_offset_y
      - .offset:         96
        .size:           8
        .value_kind:     hidden_global_offset_z
      - .offset:         104
        .size:           2
        .value_kind:     hidden_grid_dims
    .group_segment_fixed_size: 0
    .kernarg_segment_align: 8
    .kernarg_segment_size: 296
    .language:       OpenCL C
    .language_version:
      - 2
      - 0
    .max_flat_workgroup_size: 512
    .name:           _ZN9rocsolver6v33100L38stedc_mergePrepare_SetCandFlags_kernelIdEEviiPT_lS3_Pi
    .private_segment_fixed_size: 0
    .sgpr_count:     17
    .sgpr_spill_count: 0
    .symbol:         _ZN9rocsolver6v33100L38stedc_mergePrepare_SetCandFlags_kernelIdEEviiPT_lS3_Pi.kd
    .uniform_work_group_size: 1
    .uses_dynamic_stack: false
    .vgpr_count:     18
    .vgpr_spill_count: 0
    .wavefront_size: 64
  - .args:
      - .offset:         0
        .size:           4
        .value_kind:     by_value
      - .offset:         4
        .size:           4
        .value_kind:     by_value
      - .address_space:  global
        .offset:         8
        .size:           8
        .value_kind:     global_buffer
      - .offset:         16
        .size:           8
        .value_kind:     by_value
      - .address_space:  global
        .offset:         24
        .size:           8
        .value_kind:     global_buffer
      - .address_space:  global
        .offset:         32
        .size:           8
        .value_kind:     global_buffer
      - .offset:         40
        .size:           4
        .value_kind:     hidden_block_count_x
      - .offset:         44
        .size:           4
        .value_kind:     hidden_block_count_y
      - .offset:         48
        .size:           4
        .value_kind:     hidden_block_count_z
      - .offset:         52
        .size:           2
        .value_kind:     hidden_group_size_x
      - .offset:         54
        .size:           2
        .value_kind:     hidden_group_size_y
      - .offset:         56
        .size:           2
        .value_kind:     hidden_group_size_z
      - .offset:         58
        .size:           2
        .value_kind:     hidden_remainder_x
      - .offset:         60
        .size:           2
        .value_kind:     hidden_remainder_y
      - .offset:         62
        .size:           2
        .value_kind:     hidden_remainder_z
      - .offset:         80
        .size:           8
        .value_kind:     hidden_global_offset_x
      - .offset:         88
        .size:           8
        .value_kind:     hidden_global_offset_y
      - .offset:         96
        .size:           8
        .value_kind:     hidden_global_offset_z
      - .offset:         104
        .size:           2
        .value_kind:     hidden_grid_dims
    .group_segment_fixed_size: 49152
    .kernarg_segment_align: 8
    .kernarg_segment_size: 296
    .language:       OpenCL C
    .language_version:
      - 2
      - 0
    .max_flat_workgroup_size: 512
    .name:           _ZN9rocsolver6v33100L38stedc_mergePrepare_DeflateCount_kernelIdEEviiPT_lS3_Pi
    .private_segment_fixed_size: 0
    .sgpr_count:     34
    .sgpr_spill_count: 0
    .symbol:         _ZN9rocsolver6v33100L38stedc_mergePrepare_DeflateCount_kernelIdEEviiPT_lS3_Pi.kd
    .uniform_work_group_size: 1
    .uses_dynamic_stack: false
    .vgpr_count:     19
    .vgpr_spill_count: 0
    .wavefront_size: 64
  - .args:
      - .offset:         0
        .size:           4
        .value_kind:     by_value
      - .offset:         4
        .size:           4
        .value_kind:     by_value
      - .address_space:  global
        .offset:         8
        .size:           8
        .value_kind:     global_buffer
      - .offset:         16
        .size:           8
        .value_kind:     by_value
      - .address_space:  global
        .offset:         24
        .size:           8
        .value_kind:     global_buffer
      - .address_space:  global
        .offset:         32
        .size:           8
        .value_kind:     global_buffer
      - .offset:         40
        .size:           4
        .value_kind:     hidden_block_count_x
      - .offset:         44
        .size:           4
        .value_kind:     hidden_block_count_y
      - .offset:         48
        .size:           4
        .value_kind:     hidden_block_count_z
      - .offset:         52
        .size:           2
        .value_kind:     hidden_group_size_x
      - .offset:         54
        .size:           2
        .value_kind:     hidden_group_size_y
      - .offset:         56
        .size:           2
        .value_kind:     hidden_group_size_z
      - .offset:         58
        .size:           2
        .value_kind:     hidden_remainder_x
      - .offset:         60
        .size:           2
        .value_kind:     hidden_remainder_y
      - .offset:         62
        .size:           2
        .value_kind:     hidden_remainder_z
      - .offset:         80
        .size:           8
        .value_kind:     hidden_global_offset_x
      - .offset:         88
        .size:           8
        .value_kind:     hidden_global_offset_y
      - .offset:         96
        .size:           8
        .value_kind:     hidden_global_offset_z
      - .offset:         104
        .size:           2
        .value_kind:     hidden_grid_dims
    .group_segment_fixed_size: 49152
    .kernarg_segment_align: 8
    .kernarg_segment_size: 296
    .language:       OpenCL C
    .language_version:
      - 2
      - 0
    .max_flat_workgroup_size: 512
    .name:           _ZN9rocsolver6v33100L38stedc_mergePrepare_DeflateApply_kernelIdEEviiPT_lS3_Pi
    .private_segment_fixed_size: 0
    .sgpr_count:     30
    .sgpr_spill_count: 0
    .symbol:         _ZN9rocsolver6v33100L38stedc_mergePrepare_DeflateApply_kernelIdEEviiPT_lS3_Pi.kd
    .uniform_work_group_size: 1
    .uses_dynamic_stack: false
    .vgpr_count:     35
    .vgpr_spill_count: 0
    .wavefront_size: 64
  - .args:
      - .offset:         0
        .size:           4
        .value_kind:     by_value
      - .offset:         4
        .size:           4
        .value_kind:     by_value
      - .address_space:  global
        .offset:         8
        .size:           8
        .value_kind:     global_buffer
      - .offset:         16
        .size:           4
        .value_kind:     by_value
      - .offset:         20
        .size:           4
        .value_kind:     by_value
      - .offset:         24
        .size:           8
        .value_kind:     by_value
      - .address_space:  global
        .offset:         32
        .size:           8
        .value_kind:     global_buffer
      - .address_space:  global
        .offset:         40
        .size:           8
        .value_kind:     global_buffer
      - .offset:         48
        .size:           4
        .value_kind:     hidden_block_count_x
      - .offset:         52
        .size:           4
        .value_kind:     hidden_block_count_y
      - .offset:         56
        .size:           4
        .value_kind:     hidden_block_count_z
      - .offset:         60
        .size:           2
        .value_kind:     hidden_group_size_x
      - .offset:         62
        .size:           2
        .value_kind:     hidden_group_size_y
      - .offset:         64
        .size:           2
        .value_kind:     hidden_group_size_z
      - .offset:         66
        .size:           2
        .value_kind:     hidden_remainder_x
      - .offset:         68
        .size:           2
        .value_kind:     hidden_remainder_y
      - .offset:         70
        .size:           2
        .value_kind:     hidden_remainder_z
      - .offset:         88
        .size:           8
        .value_kind:     hidden_global_offset_x
      - .offset:         96
        .size:           8
        .value_kind:     hidden_global_offset_y
      - .offset:         104
        .size:           8
        .value_kind:     hidden_global_offset_z
      - .offset:         112
        .size:           2
        .value_kind:     hidden_grid_dims
    .group_segment_fixed_size: 0
    .kernarg_segment_align: 8
    .kernarg_segment_size: 304
    .language:       OpenCL C
    .language_version:
      - 2
      - 0
    .max_flat_workgroup_size: 512
    .name:           _ZN9rocsolver6v33100L24stedc_mergeRotate_kernelIdEEviiPT_iilS3_Pi
    .private_segment_fixed_size: 296
    .sgpr_count:     68
    .sgpr_spill_count: 0
    .symbol:         _ZN9rocsolver6v33100L24stedc_mergeRotate_kernelIdEEviiPT_iilS3_Pi.kd
    .uniform_work_group_size: 1
    .uses_dynamic_stack: false
    .vgpr_count:     128
    .vgpr_spill_count: 73
    .wavefront_size: 64
  - .args:
      - .offset:         0
        .size:           4
        .value_kind:     by_value
      - .offset:         4
        .size:           4
        .value_kind:     by_value
      - .address_space:  global
        .offset:         8
        .size:           8
        .value_kind:     global_buffer
      - .offset:         16
        .size:           8
        .value_kind:     by_value
      - .address_space:  global
        .offset:         24
        .size:           8
        .value_kind:     global_buffer
      - .address_space:  global
        .offset:         32
        .size:           8
        .value_kind:     global_buffer
      - .offset:         40
        .size:           4
        .value_kind:     hidden_block_count_x
      - .offset:         44
        .size:           4
        .value_kind:     hidden_block_count_y
      - .offset:         48
        .size:           4
        .value_kind:     hidden_block_count_z
      - .offset:         52
        .size:           2
        .value_kind:     hidden_group_size_x
      - .offset:         54
        .size:           2
        .value_kind:     hidden_group_size_y
      - .offset:         56
        .size:           2
        .value_kind:     hidden_group_size_z
      - .offset:         58
        .size:           2
        .value_kind:     hidden_remainder_x
      - .offset:         60
        .size:           2
        .value_kind:     hidden_remainder_y
      - .offset:         62
        .size:           2
        .value_kind:     hidden_remainder_z
      - .offset:         80
        .size:           8
        .value_kind:     hidden_global_offset_x
      - .offset:         88
        .size:           8
        .value_kind:     hidden_global_offset_y
      - .offset:         96
        .size:           8
        .value_kind:     hidden_global_offset_z
      - .offset:         104
        .size:           2
        .value_kind:     hidden_grid_dims
    .group_segment_fixed_size: 4096
    .kernarg_segment_align: 8
    .kernarg_segment_size: 296
    .language:       OpenCL C
    .language_version:
      - 2
      - 0
    .max_flat_workgroup_size: 512
    .name:           _ZN9rocsolver6v33100L31stedc_mergeValues_SortDZ_kernelIdEEviiPT_lS3_Pi
    .private_segment_fixed_size: 0
    .sgpr_count:     67
    .sgpr_spill_count: 0
    .symbol:         _ZN9rocsolver6v33100L31stedc_mergeValues_SortDZ_kernelIdEEviiPT_lS3_Pi.kd
    .uniform_work_group_size: 1
    .uses_dynamic_stack: false
    .vgpr_count:     50
    .vgpr_spill_count: 0
    .wavefront_size: 64
  - .args:
      - .offset:         0
        .size:           4
        .value_kind:     by_value
      - .offset:         4
        .size:           4
        .value_kind:     by_value
      - .address_space:  global
        .offset:         8
        .size:           8
        .value_kind:     global_buffer
      - .offset:         16
        .size:           8
        .value_kind:     by_value
      - .address_space:  global
        .offset:         24
        .size:           8
        .value_kind:     global_buffer
      - .address_space:  global
        .offset:         32
        .size:           8
        .value_kind:     global_buffer
      - .address_space:  global
        .offset:         40
        .size:           8
        .value_kind:     global_buffer
      - .offset:         48
        .size:           4
        .value_kind:     hidden_block_count_x
      - .offset:         52
        .size:           4
        .value_kind:     hidden_block_count_y
      - .offset:         56
        .size:           4
        .value_kind:     hidden_block_count_z
      - .offset:         60
        .size:           2
        .value_kind:     hidden_group_size_x
      - .offset:         62
        .size:           2
        .value_kind:     hidden_group_size_y
      - .offset:         64
        .size:           2
        .value_kind:     hidden_group_size_z
      - .offset:         66
        .size:           2
        .value_kind:     hidden_remainder_x
      - .offset:         68
        .size:           2
        .value_kind:     hidden_remainder_y
      - .offset:         70
        .size:           2
        .value_kind:     hidden_remainder_z
      - .offset:         88
        .size:           8
        .value_kind:     hidden_global_offset_x
      - .offset:         96
        .size:           8
        .value_kind:     hidden_global_offset_y
      - .offset:         104
        .size:           8
        .value_kind:     hidden_global_offset_z
      - .offset:         112
        .size:           2
        .value_kind:     hidden_grid_dims
    .group_segment_fixed_size: 0
    .kernarg_segment_align: 8
    .kernarg_segment_size: 304
    .language:       OpenCL C
    .language_version:
      - 2
      - 0
    .max_flat_workgroup_size: 512
    .name:           _ZN9rocsolver6v33100L30stedc_mergeValues_copyD_kernelIdEEviiPT_lS3_S3_Pi
    .private_segment_fixed_size: 0
    .sgpr_count:     27
    .sgpr_spill_count: 0
    .symbol:         _ZN9rocsolver6v33100L30stedc_mergeValues_copyD_kernelIdEEviiPT_lS3_S3_Pi.kd
    .uniform_work_group_size: 1
    .uses_dynamic_stack: false
    .vgpr_count:     7
    .vgpr_spill_count: 0
    .wavefront_size: 64
  - .args:
      - .offset:         0
        .size:           4
        .value_kind:     by_value
      - .address_space:  global
        .offset:         8
        .size:           8
        .value_kind:     global_buffer
      - .offset:         16
        .size:           4
        .value_kind:     by_value
      - .offset:         20
        .size:           4
        .value_kind:     by_value
      - .offset:         24
        .size:           8
        .value_kind:     by_value
      - .address_space:  global
        .offset:         32
        .size:           8
        .value_kind:     global_buffer
      - .offset:         40
        .size:           4
        .value_kind:     by_value
      - .offset:         44
        .size:           4
        .value_kind:     by_value
      - .offset:         48
        .size:           8
        .value_kind:     by_value
      - .offset:         56
        .size:           4
        .value_kind:     hidden_block_count_x
      - .offset:         60
        .size:           4
        .value_kind:     hidden_block_count_y
      - .offset:         64
        .size:           4
        .value_kind:     hidden_block_count_z
      - .offset:         68
        .size:           2
        .value_kind:     hidden_group_size_x
      - .offset:         70
        .size:           2
        .value_kind:     hidden_group_size_y
      - .offset:         72
        .size:           2
        .value_kind:     hidden_group_size_z
      - .offset:         74
        .size:           2
        .value_kind:     hidden_remainder_x
      - .offset:         76
        .size:           2
        .value_kind:     hidden_remainder_y
      - .offset:         78
        .size:           2
        .value_kind:     hidden_remainder_z
      - .offset:         96
        .size:           8
        .value_kind:     hidden_global_offset_x
      - .offset:         104
        .size:           8
        .value_kind:     hidden_global_offset_y
      - .offset:         112
        .size:           8
        .value_kind:     hidden_global_offset_z
      - .offset:         120
        .size:           2
        .value_kind:     hidden_grid_dims
    .group_segment_fixed_size: 0
    .kernarg_segment_align: 8
    .kernarg_segment_size: 312
    .language:       OpenCL C
    .language_version:
      - 2
      - 0
    .max_flat_workgroup_size: 512
    .name:           _ZN9rocsolver6v33100L11stedc_copyCIdPdS2_EEviT0_iilT1_iil
    .private_segment_fixed_size: 0
    .sgpr_count:     61
    .sgpr_spill_count: 0
    .symbol:         _ZN9rocsolver6v33100L11stedc_copyCIdPdS2_EEviT0_iilT1_iil.kd
    .uniform_work_group_size: 1
    .uses_dynamic_stack: false
    .vgpr_count:     66
    .vgpr_spill_count: 0
    .wavefront_size: 64
  - .args:
      - .offset:         0
        .size:           4
        .value_kind:     by_value
      - .address_space:  global
        .offset:         8
        .size:           8
        .value_kind:     global_buffer
      - .offset:         16
        .size:           4
        .value_kind:     by_value
      - .offset:         20
        .size:           4
        .value_kind:     by_value
      - .offset:         24
        .size:           8
        .value_kind:     by_value
      - .address_space:  global
        .offset:         32
        .size:           8
        .value_kind:     global_buffer
      - .offset:         40
        .size:           4
        .value_kind:     by_value
      - .offset:         44
        .size:           4
        .value_kind:     by_value
      - .offset:         48
        .size:           8
        .value_kind:     by_value
      - .address_space:  global
        .offset:         56
        .size:           8
        .value_kind:     global_buffer
      - .offset:         64
        .size:           4
        .value_kind:     hidden_block_count_x
      - .offset:         68
        .size:           4
        .value_kind:     hidden_block_count_y
      - .offset:         72
        .size:           4
        .value_kind:     hidden_block_count_z
      - .offset:         76
        .size:           2
        .value_kind:     hidden_group_size_x
      - .offset:         78
        .size:           2
        .value_kind:     hidden_group_size_y
      - .offset:         80
        .size:           2
        .value_kind:     hidden_group_size_z
      - .offset:         82
        .size:           2
        .value_kind:     hidden_remainder_x
      - .offset:         84
        .size:           2
        .value_kind:     hidden_remainder_y
      - .offset:         86
        .size:           2
        .value_kind:     hidden_remainder_z
      - .offset:         104
        .size:           8
        .value_kind:     hidden_global_offset_x
      - .offset:         112
        .size:           8
        .value_kind:     hidden_global_offset_y
      - .offset:         120
        .size:           8
        .value_kind:     hidden_global_offset_z
      - .offset:         128
        .size:           2
        .value_kind:     hidden_grid_dims
    .group_segment_fixed_size: 0
    .kernarg_segment_align: 8
    .kernarg_segment_size: 320
    .language:       OpenCL C
    .language_version:
      - 2
      - 0
    .max_flat_workgroup_size: 512
    .name:           _ZN9rocsolver6v33100L16stedc_reshuffleCIdPdS2_EEviT0_iilT1_iilPi
    .private_segment_fixed_size: 0
    .sgpr_count:     61
    .sgpr_spill_count: 0
    .symbol:         _ZN9rocsolver6v33100L16stedc_reshuffleCIdPdS2_EEviT0_iilT1_iilPi.kd
    .uniform_work_group_size: 1
    .uses_dynamic_stack: false
    .vgpr_count:     66
    .vgpr_spill_count: 0
    .wavefront_size: 64
  - .args:
      - .offset:         0
        .size:           4
        .value_kind:     by_value
      - .offset:         4
        .size:           4
        .value_kind:     by_value
      - .address_space:  global
        .offset:         8
        .size:           8
        .value_kind:     global_buffer
      - .offset:         16
        .size:           8
        .value_kind:     by_value
      - .address_space:  global
        .offset:         24
        .size:           8
        .value_kind:     global_buffer
      - .offset:         32
        .size:           8
        .value_kind:     by_value
      - .address_space:  global
        .offset:         40
        .size:           8
        .value_kind:     global_buffer
      - .address_space:  global
        .offset:         48
        .size:           8
        .value_kind:     global_buffer
      - .address_space:  global
        .offset:         56
        .size:           8
        .value_kind:     global_buffer
      - .offset:         64
        .size:           8
        .value_kind:     by_value
      - .offset:         72
        .size:           8
        .value_kind:     by_value
      - .offset:         80
        .size:           8
        .value_kind:     by_value
      - .offset:         88
        .size:           4
        .value_kind:     hidden_block_count_x
      - .offset:         92
        .size:           4
        .value_kind:     hidden_block_count_y
      - .offset:         96
        .size:           4
        .value_kind:     hidden_block_count_z
      - .offset:         100
        .size:           2
        .value_kind:     hidden_group_size_x
      - .offset:         102
        .size:           2
        .value_kind:     hidden_group_size_y
      - .offset:         104
        .size:           2
        .value_kind:     hidden_group_size_z
      - .offset:         106
        .size:           2
        .value_kind:     hidden_remainder_x
      - .offset:         108
        .size:           2
        .value_kind:     hidden_remainder_y
      - .offset:         110
        .size:           2
        .value_kind:     hidden_remainder_z
      - .offset:         128
        .size:           8
        .value_kind:     hidden_global_offset_x
      - .offset:         136
        .size:           8
        .value_kind:     hidden_global_offset_y
      - .offset:         144
        .size:           8
        .value_kind:     hidden_global_offset_z
      - .offset:         152
        .size:           2
        .value_kind:     hidden_grid_dims
    .group_segment_fixed_size: 0
    .kernarg_segment_align: 8
    .kernarg_segment_size: 344
    .language:       OpenCL C
    .language_version:
      - 2
      - 0
    .max_flat_workgroup_size: 4
    .name:           _ZN9rocsolver6v33100L30stedc_mergeValues_Solve_kernelIdEEviiPT_lS3_lS3_S3_PiS2_S2_S2_
    .private_segment_fixed_size: 0
    .sgpr_count:     46
    .sgpr_spill_count: 0
    .symbol:         _ZN9rocsolver6v33100L30stedc_mergeValues_Solve_kernelIdEEviiPT_lS3_lS3_S3_PiS2_S2_S2_.kd
    .uniform_work_group_size: 1
    .uses_dynamic_stack: false
    .vgpr_count:     75
    .vgpr_spill_count: 0
    .wavefront_size: 64
  - .args:
      - .offset:         0
        .size:           4
        .value_kind:     by_value
      - .offset:         4
        .size:           4
        .value_kind:     by_value
      - .address_space:  global
        .offset:         8
        .size:           8
        .value_kind:     global_buffer
      - .offset:         16
        .size:           8
        .value_kind:     by_value
      - .address_space:  global
        .offset:         24
        .size:           8
        .value_kind:     global_buffer
      - .offset:         32
        .size:           8
        .value_kind:     by_value
      - .address_space:  global
        .offset:         40
        .size:           8
        .value_kind:     global_buffer
      - .address_space:  global
        .offset:         48
        .size:           8
        .value_kind:     global_buffer
      - .address_space:  global
        .offset:         56
        .size:           8
        .value_kind:     global_buffer
      - .offset:         64
        .size:           8
        .value_kind:     by_value
      - .offset:         72
        .size:           8
        .value_kind:     by_value
      - .offset:         80
        .size:           8
        .value_kind:     by_value
      - .offset:         88
        .size:           4
        .value_kind:     hidden_block_count_x
      - .offset:         92
        .size:           4
        .value_kind:     hidden_block_count_y
      - .offset:         96
        .size:           4
        .value_kind:     hidden_block_count_z
      - .offset:         100
        .size:           2
        .value_kind:     hidden_group_size_x
      - .offset:         102
        .size:           2
        .value_kind:     hidden_group_size_y
      - .offset:         104
        .size:           2
        .value_kind:     hidden_group_size_z
      - .offset:         106
        .size:           2
        .value_kind:     hidden_remainder_x
      - .offset:         108
        .size:           2
        .value_kind:     hidden_remainder_y
      - .offset:         110
        .size:           2
        .value_kind:     hidden_remainder_z
      - .offset:         128
        .size:           8
        .value_kind:     hidden_global_offset_x
      - .offset:         136
        .size:           8
        .value_kind:     hidden_global_offset_y
      - .offset:         144
        .size:           8
        .value_kind:     hidden_global_offset_z
      - .offset:         152
        .size:           2
        .value_kind:     hidden_grid_dims
    .group_segment_fixed_size: 4096
    .kernarg_segment_align: 8
    .kernarg_segment_size: 344
    .language:       OpenCL C
    .language_version:
      - 2
      - 0
    .max_flat_workgroup_size: 512
    .name:           _ZN9rocsolver6v33100L32stedc_mergeValues_Rescale_kernelIdEEviiPT_lS3_lS3_S3_PiS2_S2_S2_
    .private_segment_fixed_size: 0
    .sgpr_count:     30
    .sgpr_spill_count: 0
    .symbol:         _ZN9rocsolver6v33100L32stedc_mergeValues_Rescale_kernelIdEEviiPT_lS3_lS3_S3_PiS2_S2_S2_.kd
    .uniform_work_group_size: 1
    .uses_dynamic_stack: false
    .vgpr_count:     18
    .vgpr_spill_count: 0
    .wavefront_size: 64
  - .args:
      - .offset:         0
        .size:           4
        .value_kind:     by_value
      - .offset:         4
        .size:           4
        .value_kind:     by_value
      - .address_space:  global
        .offset:         8
        .size:           8
        .value_kind:     global_buffer
      - .offset:         16
        .size:           4
        .value_kind:     by_value
      - .offset:         20
        .size:           4
        .value_kind:     by_value
      - .offset:         24
        .size:           8
        .value_kind:     by_value
      - .address_space:  global
        .offset:         32
        .size:           8
        .value_kind:     global_buffer
      - .address_space:  global
        .offset:         40
        .size:           8
        .value_kind:     global_buffer
      - .address_space:  global
        .offset:         48
        .size:           8
        .value_kind:     global_buffer
      - .offset:         56
        .size:           4
        .value_kind:     hidden_block_count_x
      - .offset:         60
        .size:           4
        .value_kind:     hidden_block_count_y
      - .offset:         64
        .size:           4
        .value_kind:     hidden_block_count_z
      - .offset:         68
        .size:           2
        .value_kind:     hidden_group_size_x
      - .offset:         70
        .size:           2
        .value_kind:     hidden_group_size_y
      - .offset:         72
        .size:           2
        .value_kind:     hidden_group_size_z
      - .offset:         74
        .size:           2
        .value_kind:     hidden_remainder_x
      - .offset:         76
        .size:           2
        .value_kind:     hidden_remainder_y
      - .offset:         78
        .size:           2
        .value_kind:     hidden_remainder_z
      - .offset:         96
        .size:           8
        .value_kind:     hidden_global_offset_x
      - .offset:         104
        .size:           8
        .value_kind:     hidden_global_offset_y
      - .offset:         112
        .size:           8
        .value_kind:     hidden_global_offset_z
      - .offset:         120
        .size:           2
        .value_kind:     hidden_grid_dims
    .group_segment_fixed_size: 4096
    .kernarg_segment_align: 8
    .kernarg_segment_size: 312
    .language:       OpenCL C
    .language_version:
      - 2
      - 0
    .max_flat_workgroup_size: 512
    .name:           _ZN9rocsolver6v33100L25stedc_mergeVectors_kernelILb1EdEEviiPT0_iilS3_S3_Pi
    .private_segment_fixed_size: 0
    .sgpr_count:     29
    .sgpr_spill_count: 0
    .symbol:         _ZN9rocsolver6v33100L25stedc_mergeVectors_kernelILb1EdEEviiPT0_iilS3_S3_Pi.kd
    .uniform_work_group_size: 1
    .uses_dynamic_stack: false
    .vgpr_count:     23
    .vgpr_spill_count: 0
    .wavefront_size: 64
  - .args:
      - .offset:         0
        .size:           4
        .value_kind:     by_value
      - .offset:         4
        .size:           4
        .value_kind:     by_value
      - .address_space:  global
        .offset:         8
        .size:           8
        .value_kind:     global_buffer
      - .offset:         16
        .size:           8
        .value_kind:     by_value
      - .address_space:  global
        .offset:         24
        .size:           8
        .value_kind:     global_buffer
      - .offset:         32
        .size:           4
        .value_kind:     by_value
      - .offset:         36
        .size:           4
        .value_kind:     by_value
      - .offset:         40
        .size:           8
        .value_kind:     by_value
      - .address_space:  global
        .offset:         48
        .size:           8
        .value_kind:     global_buffer
      - .address_space:  global
        .offset:         56
        .size:           8
        .value_kind:     global_buffer
      - .address_space:  global
        .offset:         64
        .size:           8
        .value_kind:     global_buffer
      - .offset:         72
        .size:           4
        .value_kind:     hidden_block_count_x
      - .offset:         76
        .size:           4
        .value_kind:     hidden_block_count_y
      - .offset:         80
        .size:           4
        .value_kind:     hidden_block_count_z
      - .offset:         84
        .size:           2
        .value_kind:     hidden_group_size_x
      - .offset:         86
        .size:           2
        .value_kind:     hidden_group_size_y
      - .offset:         88
        .size:           2
        .value_kind:     hidden_group_size_z
      - .offset:         90
        .size:           2
        .value_kind:     hidden_remainder_x
      - .offset:         92
        .size:           2
        .value_kind:     hidden_remainder_y
      - .offset:         94
        .size:           2
        .value_kind:     hidden_remainder_z
      - .offset:         112
        .size:           8
        .value_kind:     hidden_global_offset_x
      - .offset:         120
        .size:           8
        .value_kind:     hidden_global_offset_y
      - .offset:         128
        .size:           8
        .value_kind:     hidden_global_offset_z
      - .offset:         136
        .size:           2
        .value_kind:     hidden_grid_dims
    .group_segment_fixed_size: 0
    .kernarg_segment_align: 8
    .kernarg_segment_size: 328
    .language:       OpenCL C
    .language_version:
      - 2
      - 0
    .max_flat_workgroup_size: 512
    .name:           _ZN9rocsolver6v33100L24stedc_mergeUpdate_kernelIdEEviiPT_lS3_iilS3_S3_Pi
    .private_segment_fixed_size: 0
    .sgpr_count:     32
    .sgpr_spill_count: 0
    .symbol:         _ZN9rocsolver6v33100L24stedc_mergeUpdate_kernelIdEEviiPT_lS3_iilS3_S3_Pi.kd
    .uniform_work_group_size: 1
    .uses_dynamic_stack: false
    .vgpr_count:     7
    .vgpr_spill_count: 0
    .wavefront_size: 64
  - .args:
      - .offset:         0
        .size:           4
        .value_kind:     by_value
      - .offset:         4
        .size:           4
        .value_kind:     by_value
      - .offset:         8
        .size:           4
        .value_kind:     by_value
      - .address_space:  global
        .offset:         16
        .size:           8
        .value_kind:     global_buffer
      - .offset:         24
        .size:           4
        .value_kind:     by_value
      - .offset:         28
        .size:           4
        .value_kind:     by_value
      - .offset:         32
        .size:           8
        .value_kind:     by_value
      - .address_space:  global
        .offset:         40
        .size:           8
        .value_kind:     global_buffer
      - .offset:         48
        .size:           1
        .value_kind:     by_value
      - .offset:         52
        .size:           4
        .value_kind:     by_value
      - .offset:         56
        .size:           4
        .value_kind:     by_value
      - .offset:         64
        .size:           4
        .value_kind:     hidden_block_count_x
      - .offset:         68
        .size:           4
        .value_kind:     hidden_block_count_y
      - .offset:         72
        .size:           4
        .value_kind:     hidden_block_count_z
      - .offset:         76
        .size:           2
        .value_kind:     hidden_group_size_x
      - .offset:         78
        .size:           2
        .value_kind:     hidden_group_size_y
      - .offset:         80
        .size:           2
        .value_kind:     hidden_group_size_z
      - .offset:         82
        .size:           2
        .value_kind:     hidden_remainder_x
      - .offset:         84
        .size:           2
        .value_kind:     hidden_remainder_y
      - .offset:         86
        .size:           2
        .value_kind:     hidden_remainder_z
      - .offset:         104
        .size:           8
        .value_kind:     hidden_global_offset_x
      - .offset:         112
        .size:           8
        .value_kind:     hidden_global_offset_y
      - .offset:         120
        .size:           8
        .value_kind:     hidden_global_offset_z
      - .offset:         128
        .size:           2
        .value_kind:     hidden_grid_dims
    .group_segment_fixed_size: 0
    .kernarg_segment_align: 8
    .kernarg_segment_size: 320
    .language:       OpenCL C
    .language_version:
      - 2
      - 0
    .max_flat_workgroup_size: 1024
    .name:           _ZN9rocsolver6v33100L8copy_matIdPdNS0_7no_maskEEEvNS0_17copymat_directionEiiT0_iilPT_T1_13rocblas_fill_17rocblas_diagonal_
    .private_segment_fixed_size: 0
    .sgpr_count:     28
    .sgpr_spill_count: 0
    .symbol:         _ZN9rocsolver6v33100L8copy_matIdPdNS0_7no_maskEEEvNS0_17copymat_directionEiiT0_iilPT_T1_13rocblas_fill_17rocblas_diagonal_.kd
    .uniform_work_group_size: 1
    .uses_dynamic_stack: false
    .vgpr_count:     6
    .vgpr_spill_count: 0
    .wavefront_size: 64
  - .args:
      - .offset:         0
        .size:           4
        .value_kind:     by_value
      - .address_space:  global
        .offset:         8
        .size:           8
        .value_kind:     global_buffer
      - .offset:         16
        .size:           8
        .value_kind:     by_value
      - .address_space:  global
        .offset:         24
        .size:           8
        .value_kind:     global_buffer
      - .offset:         32
        .size:           8
        .value_kind:     by_value
      - .offset:         40
        .size:           4
        .value_kind:     hidden_block_count_x
      - .offset:         44
        .size:           4
        .value_kind:     hidden_block_count_y
      - .offset:         48
        .size:           4
        .value_kind:     hidden_block_count_z
      - .offset:         52
        .size:           2
        .value_kind:     hidden_group_size_x
      - .offset:         54
        .size:           2
        .value_kind:     hidden_group_size_y
      - .offset:         56
        .size:           2
        .value_kind:     hidden_group_size_z
      - .offset:         58
        .size:           2
        .value_kind:     hidden_remainder_x
      - .offset:         60
        .size:           2
        .value_kind:     hidden_remainder_y
      - .offset:         62
        .size:           2
        .value_kind:     hidden_remainder_z
      - .offset:         80
        .size:           8
        .value_kind:     hidden_global_offset_x
      - .offset:         88
        .size:           8
        .value_kind:     hidden_global_offset_y
      - .offset:         96
        .size:           8
        .value_kind:     hidden_global_offset_z
      - .offset:         104
        .size:           2
        .value_kind:     hidden_grid_dims
    .group_segment_fixed_size: 0
    .kernarg_segment_align: 8
    .kernarg_segment_size: 296
    .language:       OpenCL C
    .language_version:
      - 2
      - 0
    .max_flat_workgroup_size: 512
    .name:           _ZN9rocsolver6v33100L11stedc_copyDIdEEviPT_lS3_l
    .private_segment_fixed_size: 0
    .sgpr_count:     61
    .sgpr_spill_count: 0
    .symbol:         _ZN9rocsolver6v33100L11stedc_copyDIdEEviPT_lS3_l.kd
    .uniform_work_group_size: 1
    .uses_dynamic_stack: false
    .vgpr_count:     66
    .vgpr_spill_count: 0
    .wavefront_size: 64
  - .args:
      - .offset:         0
        .size:           4
        .value_kind:     by_value
      - .address_space:  global
        .offset:         8
        .size:           8
        .value_kind:     global_buffer
      - .offset:         16
        .size:           8
        .value_kind:     by_value
      - .address_space:  global
        .offset:         24
        .size:           8
        .value_kind:     global_buffer
      - .offset:         32
        .size:           8
        .value_kind:     by_value
      - .address_space:  global
        .offset:         40
        .size:           8
        .value_kind:     global_buffer
      - .offset:         48
        .size:           4
        .value_kind:     by_value
      - .offset:         52
        .size:           4
        .value_kind:     by_value
      - .offset:         56
        .size:           8
        .value_kind:     by_value
      - .address_space:  global
        .offset:         64
        .size:           8
        .value_kind:     global_buffer
      - .offset:         72
        .size:           4
        .value_kind:     by_value
      - .offset:         76
        .size:           4
        .value_kind:     by_value
      - .offset:         80
        .size:           8
        .value_kind:     by_value
      - .offset:         88
        .size:           4
        .value_kind:     hidden_block_count_x
      - .offset:         92
        .size:           4
        .value_kind:     hidden_block_count_y
      - .offset:         96
        .size:           4
        .value_kind:     hidden_block_count_z
      - .offset:         100
        .size:           2
        .value_kind:     hidden_group_size_x
      - .offset:         102
        .size:           2
        .value_kind:     hidden_group_size_y
      - .offset:         104
        .size:           2
        .value_kind:     hidden_group_size_z
      - .offset:         106
        .size:           2
        .value_kind:     hidden_remainder_x
      - .offset:         108
        .size:           2
        .value_kind:     hidden_remainder_y
      - .offset:         110
        .size:           2
        .value_kind:     hidden_remainder_z
      - .offset:         128
        .size:           8
        .value_kind:     hidden_global_offset_x
      - .offset:         136
        .size:           8
        .value_kind:     hidden_global_offset_y
      - .offset:         144
        .size:           8
        .value_kind:     hidden_global_offset_z
      - .offset:         152
        .size:           2
        .value_kind:     hidden_grid_dims
    .group_segment_fixed_size: 2048
    .kernarg_segment_align: 8
    .kernarg_segment_size: 344
    .language:       OpenCL C
    .language_version:
      - 2
      - 0
    .max_flat_workgroup_size: 512
    .name:           _ZN9rocsolver6v33100L10stedc_sortIddPdS2_EEviPT0_lS4_lT1_iilT2_iil
    .private_segment_fixed_size: 0
    .sgpr_count:     77
    .sgpr_spill_count: 0
    .symbol:         _ZN9rocsolver6v33100L10stedc_sortIddPdS2_EEviPT0_lS4_lT1_iilT2_iil.kd
    .uniform_work_group_size: 1
    .uses_dynamic_stack: false
    .vgpr_count:     67
    .vgpr_spill_count: 0
    .wavefront_size: 64
  - .args:
      - .address_space:  global
        .offset:         0
        .size:           8
        .value_kind:     global_buffer
      - .offset:         8
        .size:           8
        .value_kind:     by_value
      - .offset:         16
        .size:           4
        .value_kind:     by_value
      - .offset:         20
        .size:           4
        .value_kind:     by_value
      - .offset:         24
        .size:           4
        .value_kind:     hidden_block_count_x
      - .offset:         28
        .size:           4
        .value_kind:     hidden_block_count_y
      - .offset:         32
        .size:           4
        .value_kind:     hidden_block_count_z
      - .offset:         36
        .size:           2
        .value_kind:     hidden_group_size_x
      - .offset:         38
        .size:           2
        .value_kind:     hidden_group_size_y
      - .offset:         40
        .size:           2
        .value_kind:     hidden_group_size_z
      - .offset:         42
        .size:           2
        .value_kind:     hidden_remainder_x
      - .offset:         44
        .size:           2
        .value_kind:     hidden_remainder_y
      - .offset:         46
        .size:           2
        .value_kind:     hidden_remainder_z
      - .offset:         64
        .size:           8
        .value_kind:     hidden_global_offset_x
      - .offset:         72
        .size:           8
        .value_kind:     hidden_global_offset_y
      - .offset:         80
        .size:           8
        .value_kind:     hidden_global_offset_z
      - .offset:         88
        .size:           2
        .value_kind:     hidden_grid_dims
    .group_segment_fixed_size: 0
    .kernarg_segment_align: 8
    .kernarg_segment_size: 280
    .language:       OpenCL C
    .language_version:
      - 2
      - 0
    .max_flat_workgroup_size: 1024
    .name:           _ZN9rocsolver6v33100L16reset_batch_infoI19rocblas_complex_numIfEiiPS3_EEvT2_lT0_T1_
    .private_segment_fixed_size: 0
    .sgpr_count:     16
    .sgpr_spill_count: 0
    .symbol:         _ZN9rocsolver6v33100L16reset_batch_infoI19rocblas_complex_numIfEiiPS3_EEvT2_lT0_T1_.kd
    .uniform_work_group_size: 1
    .uses_dynamic_stack: false
    .vgpr_count:     4
    .vgpr_spill_count: 0
    .wavefront_size: 64
  - .args:
      - .offset:         0
        .size:           4
        .value_kind:     by_value
      - .offset:         4
        .size:           4
        .value_kind:     by_value
      - .address_space:  global
        .offset:         8
        .size:           8
        .value_kind:     global_buffer
      - .offset:         16
        .size:           4
        .value_kind:     by_value
      - .offset:         20
        .size:           4
        .value_kind:     by_value
      - .offset:         24
        .size:           8
        .value_kind:     by_value
      - .offset:         32
        .size:           4
        .value_kind:     hidden_block_count_x
      - .offset:         36
        .size:           4
        .value_kind:     hidden_block_count_y
      - .offset:         40
        .size:           4
        .value_kind:     hidden_block_count_z
      - .offset:         44
        .size:           2
        .value_kind:     hidden_group_size_x
      - .offset:         46
        .size:           2
        .value_kind:     hidden_group_size_y
      - .offset:         48
        .size:           2
        .value_kind:     hidden_group_size_z
      - .offset:         50
        .size:           2
        .value_kind:     hidden_remainder_x
      - .offset:         52
        .size:           2
        .value_kind:     hidden_remainder_y
      - .offset:         54
        .size:           2
        .value_kind:     hidden_remainder_z
      - .offset:         72
        .size:           8
        .value_kind:     hidden_global_offset_x
      - .offset:         80
        .size:           8
        .value_kind:     hidden_global_offset_y
      - .offset:         88
        .size:           8
        .value_kind:     hidden_global_offset_z
      - .offset:         96
        .size:           2
        .value_kind:     hidden_grid_dims
    .group_segment_fixed_size: 0
    .kernarg_segment_align: 8
    .kernarg_segment_size: 288
    .language:       OpenCL C
    .language_version:
      - 2
      - 0
    .max_flat_workgroup_size: 1024
    .name:           _ZN9rocsolver6v33100L10init_identI19rocblas_complex_numIfEPS3_EEviiT0_iil
    .private_segment_fixed_size: 0
    .sgpr_count:     13
    .sgpr_spill_count: 0
    .symbol:         _ZN9rocsolver6v33100L10init_identI19rocblas_complex_numIfEPS3_EEviiT0_iil.kd
    .uniform_work_group_size: 1
    .uses_dynamic_stack: false
    .vgpr_count:     7
    .vgpr_spill_count: 0
    .wavefront_size: 64
  - .args:
      - .offset:         0
        .size:           4
        .value_kind:     by_value
      - .offset:         4
        .size:           4
        .value_kind:     by_value
      - .offset:         8
        .size:           4
        .value_kind:     by_value
      - .offset:         12
        .size:           4
        .value_kind:     by_value
      - .offset:         16
        .size:           4
        .value_kind:     by_value
      - .address_space:  global
        .offset:         24
        .size:           8
        .value_kind:     global_buffer
      - .offset:         32
        .size:           8
        .value_kind:     by_value
      - .address_space:  global
        .offset:         40
        .size:           8
        .value_kind:     global_buffer
      - .offset:         48
        .size:           8
        .value_kind:     by_value
      - .address_space:  global
        .offset:         56
        .size:           8
        .value_kind:     global_buffer
      - .offset:         64
        .size:           8
        .value_kind:     by_value
      - .offset:         72
        .size:           4
        .value_kind:     by_value
      - .offset:         80
        .size:           8
        .value_kind:     by_value
      - .offset:         88
        .size:           4
        .value_kind:     by_value
      - .offset:         96
        .size:           4
        .value_kind:     hidden_block_count_x
      - .offset:         100
        .size:           4
        .value_kind:     hidden_block_count_y
      - .offset:         104
        .size:           4
        .value_kind:     hidden_block_count_z
      - .offset:         108
        .size:           2
        .value_kind:     hidden_group_size_x
      - .offset:         110
        .size:           2
        .value_kind:     hidden_group_size_y
      - .offset:         112
        .size:           2
        .value_kind:     hidden_group_size_z
      - .offset:         114
        .size:           2
        .value_kind:     hidden_remainder_x
      - .offset:         116
        .size:           2
        .value_kind:     hidden_remainder_y
      - .offset:         118
        .size:           2
        .value_kind:     hidden_remainder_z
      - .offset:         136
        .size:           8
        .value_kind:     hidden_global_offset_x
      - .offset:         144
        .size:           8
        .value_kind:     hidden_global_offset_y
      - .offset:         152
        .size:           8
        .value_kind:     hidden_global_offset_z
      - .offset:         160
        .size:           2
        .value_kind:     hidden_grid_dims
    .group_segment_fixed_size: 0
    .kernarg_segment_align: 8
    .kernarg_segment_size: 352
    .language:       OpenCL C
    .language_version:
      - 2
      - 0
    .max_flat_workgroup_size: 64
    .name:           _ZN9rocsolver6v33100L11lasr_kernelI19rocblas_complex_numIfEfPS3_iEEv13rocblas_side_14rocblas_pivot_15rocblas_direct_T2_S8_PT0_lSA_lT1_lS8_lS8_
    .private_segment_fixed_size: 0
    .sgpr_count:     100
    .sgpr_spill_count: 11
    .symbol:         _ZN9rocsolver6v33100L11lasr_kernelI19rocblas_complex_numIfEfPS3_iEEv13rocblas_side_14rocblas_pivot_15rocblas_direct_T2_S8_PT0_lSA_lT1_lS8_lS8_.kd
    .uniform_work_group_size: 1
    .uses_dynamic_stack: false
    .vgpr_count:     47
    .vgpr_spill_count: 0
    .wavefront_size: 64
  - .args:
      - .offset:         0
        .size:           4
        .value_kind:     by_value
      - .address_space:  global
        .offset:         8
        .size:           8
        .value_kind:     global_buffer
      - .offset:         16
        .size:           4
        .value_kind:     by_value
      - .address_space:  global
        .offset:         24
        .size:           8
        .value_kind:     global_buffer
      - .offset:         32
        .size:           4
        .value_kind:     by_value
      - .offset:         40
        .size:           4
        .value_kind:     hidden_block_count_x
      - .offset:         44
        .size:           4
        .value_kind:     hidden_block_count_y
      - .offset:         48
        .size:           4
        .value_kind:     hidden_block_count_z
      - .offset:         52
        .size:           2
        .value_kind:     hidden_group_size_x
      - .offset:         54
        .size:           2
        .value_kind:     hidden_group_size_y
      - .offset:         56
        .size:           2
        .value_kind:     hidden_group_size_z
      - .offset:         58
        .size:           2
        .value_kind:     hidden_remainder_x
      - .offset:         60
        .size:           2
        .value_kind:     hidden_remainder_y
      - .offset:         62
        .size:           2
        .value_kind:     hidden_remainder_z
      - .offset:         80
        .size:           8
        .value_kind:     hidden_global_offset_x
      - .offset:         88
        .size:           8
        .value_kind:     hidden_global_offset_y
      - .offset:         96
        .size:           8
        .value_kind:     hidden_global_offset_z
      - .offset:         104
        .size:           2
        .value_kind:     hidden_grid_dims
    .group_segment_fixed_size: 0
    .kernarg_segment_align: 8
    .kernarg_segment_size: 296
    .language:       OpenCL C
    .language_version:
      - 2
      - 0
    .max_flat_workgroup_size: 1024
    .name:           _ZN9rocsolver6v33100L11swap_kernelI19rocblas_complex_numIfEiEEvT0_PT_S4_S6_S4_
    .private_segment_fixed_size: 0
    .sgpr_count:     21
    .sgpr_spill_count: 0
    .symbol:         _ZN9rocsolver6v33100L11swap_kernelI19rocblas_complex_numIfEiEEvT0_PT_S4_S6_S4_.kd
    .uniform_work_group_size: 1
    .uses_dynamic_stack: false
    .vgpr_count:     14
    .vgpr_spill_count: 0
    .wavefront_size: 64
  - .args:
      - .offset:         0
        .size:           4
        .value_kind:     by_value
      - .address_space:  global
        .offset:         8
        .size:           8
        .value_kind:     global_buffer
      - .offset:         16
        .size:           8
        .value_kind:     by_value
      - .address_space:  global
        .offset:         24
        .size:           8
        .value_kind:     global_buffer
      - .offset:         32
        .size:           8
        .value_kind:     by_value
      - .address_space:  global
        .offset:         40
        .size:           8
        .value_kind:     global_buffer
      - .offset:         48
        .size:           4
        .value_kind:     by_value
      - .offset:         52
        .size:           4
        .value_kind:     by_value
      - .offset:         56
        .size:           8
        .value_kind:     by_value
      - .address_space:  global
        .offset:         64
        .size:           8
        .value_kind:     global_buffer
      - .address_space:  global
        .offset:         72
        .size:           8
        .value_kind:     global_buffer
      - .offset:         80
        .size:           4
        .value_kind:     by_value
      - .offset:         84
        .size:           4
        .value_kind:     by_value
      - .offset:         88
        .size:           4
        .value_kind:     by_value
      - .offset:         92
        .size:           4
        .value_kind:     by_value
      - .offset:         96
        .size:           4
        .value_kind:     hidden_block_count_x
      - .offset:         100
        .size:           4
        .value_kind:     hidden_block_count_y
      - .offset:         104
        .size:           4
        .value_kind:     hidden_block_count_z
      - .offset:         108
        .size:           2
        .value_kind:     hidden_group_size_x
      - .offset:         110
        .size:           2
        .value_kind:     hidden_group_size_y
      - .offset:         112
        .size:           2
        .value_kind:     hidden_group_size_z
      - .offset:         114
        .size:           2
        .value_kind:     hidden_remainder_x
      - .offset:         116
        .size:           2
        .value_kind:     hidden_remainder_y
      - .offset:         118
        .size:           2
        .value_kind:     hidden_remainder_z
      - .offset:         136
        .size:           8
        .value_kind:     hidden_global_offset_x
      - .offset:         144
        .size:           8
        .value_kind:     hidden_global_offset_y
      - .offset:         152
        .size:           8
        .value_kind:     hidden_global_offset_z
      - .offset:         160
        .size:           2
        .value_kind:     hidden_grid_dims
    .group_segment_fixed_size: 36
    .kernarg_segment_align: 8
    .kernarg_segment_size: 352
    .language:       OpenCL C
    .language_version:
      - 2
      - 0
    .max_flat_workgroup_size: 1024
    .name:           _ZN9rocsolver6v33100L12steqr_kernelI19rocblas_complex_numIfEfPS3_EEviPT0_lS6_lT1_iilPiS6_iS5_S5_S5_
    .private_segment_fixed_size: 0
    .sgpr_count:     100
    .sgpr_spill_count: 4
    .symbol:         _ZN9rocsolver6v33100L12steqr_kernelI19rocblas_complex_numIfEfPS3_EEviPT0_lS6_lT1_iilPiS6_iS5_S5_S5_.kd
    .uniform_work_group_size: 1
    .uses_dynamic_stack: false
    .vgpr_count:     61
    .vgpr_spill_count: 0
    .wavefront_size: 64
  - .args:
      - .offset:         0
        .size:           4
        .value_kind:     by_value
      - .offset:         4
        .size:           4
        .value_kind:     by_value
      - .offset:         8
        .size:           4
        .value_kind:     by_value
      - .address_space:  global
        .offset:         16
        .size:           8
        .value_kind:     global_buffer
      - .offset:         24
        .size:           4
        .value_kind:     by_value
      - .offset:         28
        .size:           4
        .value_kind:     by_value
      - .offset:         32
        .size:           8
        .value_kind:     by_value
      - .address_space:  global
        .offset:         40
        .size:           8
        .value_kind:     global_buffer
      - .offset:         48
        .size:           4
        .value_kind:     by_value
      - .offset:         52
        .size:           4
        .value_kind:     by_value
      - .offset:         56
        .size:           4
        .value_kind:     hidden_block_count_x
      - .offset:         60
        .size:           4
        .value_kind:     hidden_block_count_y
      - .offset:         64
        .size:           4
        .value_kind:     hidden_block_count_z
      - .offset:         68
        .size:           2
        .value_kind:     hidden_group_size_x
      - .offset:         70
        .size:           2
        .value_kind:     hidden_group_size_y
      - .offset:         72
        .size:           2
        .value_kind:     hidden_group_size_z
      - .offset:         74
        .size:           2
        .value_kind:     hidden_remainder_x
      - .offset:         76
        .size:           2
        .value_kind:     hidden_remainder_y
      - .offset:         78
        .size:           2
        .value_kind:     hidden_remainder_z
      - .offset:         96
        .size:           8
        .value_kind:     hidden_global_offset_x
      - .offset:         104
        .size:           8
        .value_kind:     hidden_global_offset_y
      - .offset:         112
        .size:           8
        .value_kind:     hidden_global_offset_z
      - .offset:         120
        .size:           2
        .value_kind:     hidden_grid_dims
    .group_segment_fixed_size: 0
    .kernarg_segment_align: 8
    .kernarg_segment_size: 312
    .language:       OpenCL C
    .language_version:
      - 2
      - 0
    .max_flat_workgroup_size: 1024
    .name:           _ZN9rocsolver6v33100L8copy_matI19rocblas_complex_numIfEfLb0EPS3_TnNSt9enable_ifIX18rocblas_is_complexIT_EEiE4typeELi0EEEvNS0_17copymat_directionEiiT2_iilPT0_13rocblas_fill_17rocblas_diagonal_
    .private_segment_fixed_size: 0
    .sgpr_count:     28
    .sgpr_spill_count: 0
    .symbol:         _ZN9rocsolver6v33100L8copy_matI19rocblas_complex_numIfEfLb0EPS3_TnNSt9enable_ifIX18rocblas_is_complexIT_EEiE4typeELi0EEEvNS0_17copymat_directionEiiT2_iilPT0_13rocblas_fill_17rocblas_diagonal_.kd
    .uniform_work_group_size: 1
    .uses_dynamic_stack: false
    .vgpr_count:     8
    .vgpr_spill_count: 0
    .wavefront_size: 64
  - .args:
      - .offset:         0
        .size:           4
        .value_kind:     by_value
      - .offset:         4
        .size:           4
        .value_kind:     by_value
      - .address_space:  global
        .offset:         8
        .size:           8
        .value_kind:     global_buffer
      - .offset:         16
        .size:           4
        .value_kind:     by_value
      - .offset:         20
        .size:           4
        .value_kind:     by_value
      - .offset:         24
        .size:           8
        .value_kind:     by_value
      - .offset:         32
        .size:           4
        .value_kind:     by_value
      - .offset:         40
        .size:           4
        .value_kind:     hidden_block_count_x
      - .offset:         44
        .size:           4
        .value_kind:     hidden_block_count_y
      - .offset:         48
        .size:           4
        .value_kind:     hidden_block_count_z
      - .offset:         52
        .size:           2
        .value_kind:     hidden_group_size_x
      - .offset:         54
        .size:           2
        .value_kind:     hidden_group_size_y
      - .offset:         56
        .size:           2
        .value_kind:     hidden_group_size_z
      - .offset:         58
        .size:           2
        .value_kind:     hidden_remainder_x
      - .offset:         60
        .size:           2
        .value_kind:     hidden_remainder_y
      - .offset:         62
        .size:           2
        .value_kind:     hidden_remainder_z
      - .offset:         80
        .size:           8
        .value_kind:     hidden_global_offset_x
      - .offset:         88
        .size:           8
        .value_kind:     hidden_global_offset_y
      - .offset:         96
        .size:           8
        .value_kind:     hidden_global_offset_z
      - .offset:         104
        .size:           2
        .value_kind:     hidden_grid_dims
    .group_segment_fixed_size: 0
    .kernarg_segment_align: 8
    .kernarg_segment_size: 296
    .language:       OpenCL C
    .language_version:
      - 2
      - 0
    .max_flat_workgroup_size: 1024
    .name:           _ZN9rocsolver6v33100L8set_zeroI19rocblas_complex_numIfEPS3_EEviiT0_iil13rocblas_fill_
    .private_segment_fixed_size: 0
    .sgpr_count:     13
    .sgpr_spill_count: 0
    .symbol:         _ZN9rocsolver6v33100L8set_zeroI19rocblas_complex_numIfEPS3_EEviiT0_iil13rocblas_fill_.kd
    .uniform_work_group_size: 1
    .uses_dynamic_stack: false
    .vgpr_count:     4
    .vgpr_spill_count: 0
    .wavefront_size: 64
  - .args:
      - .offset:         0
        .size:           4
        .value_kind:     by_value
      - .offset:         4
        .size:           4
        .value_kind:     by_value
      - .offset:         8
        .size:           4
        .value_kind:     by_value
      - .address_space:  global
        .offset:         16
        .size:           8
        .value_kind:     global_buffer
      - .offset:         24
        .size:           4
        .value_kind:     by_value
      - .offset:         28
        .size:           4
        .value_kind:     by_value
      - .offset:         32
        .size:           8
        .value_kind:     by_value
      - .address_space:  global
        .offset:         40
        .size:           8
        .value_kind:     global_buffer
      - .offset:         48
        .size:           4
        .value_kind:     by_value
      - .offset:         52
        .size:           4
        .value_kind:     by_value
      - .offset:         56
        .size:           4
        .value_kind:     hidden_block_count_x
      - .offset:         60
        .size:           4
        .value_kind:     hidden_block_count_y
      - .offset:         64
        .size:           4
        .value_kind:     hidden_block_count_z
      - .offset:         68
        .size:           2
        .value_kind:     hidden_group_size_x
      - .offset:         70
        .size:           2
        .value_kind:     hidden_group_size_y
      - .offset:         72
        .size:           2
        .value_kind:     hidden_group_size_z
      - .offset:         74
        .size:           2
        .value_kind:     hidden_remainder_x
      - .offset:         76
        .size:           2
        .value_kind:     hidden_remainder_y
      - .offset:         78
        .size:           2
        .value_kind:     hidden_remainder_z
      - .offset:         96
        .size:           8
        .value_kind:     hidden_global_offset_x
      - .offset:         104
        .size:           8
        .value_kind:     hidden_global_offset_y
      - .offset:         112
        .size:           8
        .value_kind:     hidden_global_offset_z
      - .offset:         120
        .size:           2
        .value_kind:     hidden_grid_dims
    .group_segment_fixed_size: 0
    .kernarg_segment_align: 8
    .kernarg_segment_size: 312
    .language:       OpenCL C
    .language_version:
      - 2
      - 0
    .max_flat_workgroup_size: 1024
    .name:           _ZN9rocsolver6v33100L8copy_matI19rocblas_complex_numIfEfLb1EPS3_TnNSt9enable_ifIX18rocblas_is_complexIT_EEiE4typeELi0EEEvNS0_17copymat_directionEiiT2_iilPT0_13rocblas_fill_17rocblas_diagonal_
    .private_segment_fixed_size: 0
    .sgpr_count:     28
    .sgpr_spill_count: 0
    .symbol:         _ZN9rocsolver6v33100L8copy_matI19rocblas_complex_numIfEfLb1EPS3_TnNSt9enable_ifIX18rocblas_is_complexIT_EEiE4typeELi0EEEvNS0_17copymat_directionEiiT2_iilPT0_13rocblas_fill_17rocblas_diagonal_.kd
    .uniform_work_group_size: 1
    .uses_dynamic_stack: false
    .vgpr_count:     8
    .vgpr_spill_count: 0
    .wavefront_size: 64
  - .args:
      - .offset:         0
        .size:           4
        .value_kind:     by_value
      - .address_space:  global
        .offset:         8
        .size:           8
        .value_kind:     global_buffer
      - .offset:         16
        .size:           4
        .value_kind:     by_value
      - .offset:         20
        .size:           4
        .value_kind:     by_value
      - .offset:         24
        .size:           8
        .value_kind:     by_value
      - .address_space:  global
        .offset:         32
        .size:           8
        .value_kind:     global_buffer
      - .offset:         40
        .size:           4
        .value_kind:     by_value
      - .offset:         44
        .size:           4
        .value_kind:     by_value
      - .offset:         48
        .size:           8
        .value_kind:     by_value
      - .offset:         56
        .size:           4
        .value_kind:     hidden_block_count_x
      - .offset:         60
        .size:           4
        .value_kind:     hidden_block_count_y
      - .offset:         64
        .size:           4
        .value_kind:     hidden_block_count_z
      - .offset:         68
        .size:           2
        .value_kind:     hidden_group_size_x
      - .offset:         70
        .size:           2
        .value_kind:     hidden_group_size_y
      - .offset:         72
        .size:           2
        .value_kind:     hidden_group_size_z
      - .offset:         74
        .size:           2
        .value_kind:     hidden_remainder_x
      - .offset:         76
        .size:           2
        .value_kind:     hidden_remainder_y
      - .offset:         78
        .size:           2
        .value_kind:     hidden_remainder_z
      - .offset:         96
        .size:           8
        .value_kind:     hidden_global_offset_x
      - .offset:         104
        .size:           8
        .value_kind:     hidden_global_offset_y
      - .offset:         112
        .size:           8
        .value_kind:     hidden_global_offset_z
      - .offset:         120
        .size:           2
        .value_kind:     hidden_grid_dims
    .group_segment_fixed_size: 0
    .kernarg_segment_align: 8
    .kernarg_segment_size: 312
    .language:       OpenCL C
    .language_version:
      - 2
      - 0
    .max_flat_workgroup_size: 512
    .name:           _ZN9rocsolver6v33100L11stedc_copyCI19rocblas_complex_numIfEPS3_S4_EEviT0_iilT1_iil
    .private_segment_fixed_size: 0
    .sgpr_count:     61
    .sgpr_spill_count: 0
    .symbol:         _ZN9rocsolver6v33100L11stedc_copyCI19rocblas_complex_numIfEPS3_S4_EEviT0_iilT1_iil.kd
    .uniform_work_group_size: 1
    .uses_dynamic_stack: false
    .vgpr_count:     66
    .vgpr_spill_count: 0
    .wavefront_size: 64
  - .args:
      - .offset:         0
        .size:           4
        .value_kind:     by_value
      - .address_space:  global
        .offset:         8
        .size:           8
        .value_kind:     global_buffer
      - .offset:         16
        .size:           8
        .value_kind:     by_value
      - .address_space:  global
        .offset:         24
        .size:           8
        .value_kind:     global_buffer
      - .offset:         32
        .size:           8
        .value_kind:     by_value
      - .address_space:  global
        .offset:         40
        .size:           8
        .value_kind:     global_buffer
      - .offset:         48
        .size:           4
        .value_kind:     by_value
      - .offset:         52
        .size:           4
        .value_kind:     by_value
      - .offset:         56
        .size:           8
        .value_kind:     by_value
      - .address_space:  global
        .offset:         64
        .size:           8
        .value_kind:     global_buffer
      - .offset:         72
        .size:           4
        .value_kind:     by_value
      - .offset:         76
        .size:           4
        .value_kind:     by_value
      - .offset:         80
        .size:           8
        .value_kind:     by_value
      - .offset:         88
        .size:           4
        .value_kind:     hidden_block_count_x
      - .offset:         92
        .size:           4
        .value_kind:     hidden_block_count_y
      - .offset:         96
        .size:           4
        .value_kind:     hidden_block_count_z
      - .offset:         100
        .size:           2
        .value_kind:     hidden_group_size_x
      - .offset:         102
        .size:           2
        .value_kind:     hidden_group_size_y
      - .offset:         104
        .size:           2
        .value_kind:     hidden_group_size_z
      - .offset:         106
        .size:           2
        .value_kind:     hidden_remainder_x
      - .offset:         108
        .size:           2
        .value_kind:     hidden_remainder_y
      - .offset:         110
        .size:           2
        .value_kind:     hidden_remainder_z
      - .offset:         128
        .size:           8
        .value_kind:     hidden_global_offset_x
      - .offset:         136
        .size:           8
        .value_kind:     hidden_global_offset_y
      - .offset:         144
        .size:           8
        .value_kind:     hidden_global_offset_z
      - .offset:         152
        .size:           2
        .value_kind:     hidden_grid_dims
    .group_segment_fixed_size: 2048
    .kernarg_segment_align: 8
    .kernarg_segment_size: 344
    .language:       OpenCL C
    .language_version:
      - 2
      - 0
    .max_flat_workgroup_size: 512
    .name:           _ZN9rocsolver6v33100L10stedc_sortI19rocblas_complex_numIfEfPS3_S4_EEviPT0_lS6_lT1_iilT2_iil
    .private_segment_fixed_size: 0
    .sgpr_count:     76
    .sgpr_spill_count: 0
    .symbol:         _ZN9rocsolver6v33100L10stedc_sortI19rocblas_complex_numIfEfPS3_S4_EEviPT0_lS6_lT1_iilT2_iil.kd
    .uniform_work_group_size: 1
    .uses_dynamic_stack: false
    .vgpr_count:     66
    .vgpr_spill_count: 0
    .wavefront_size: 64
  - .args:
      - .address_space:  global
        .offset:         0
        .size:           8
        .value_kind:     global_buffer
      - .offset:         8
        .size:           8
        .value_kind:     by_value
      - .offset:         16
        .size:           4
        .value_kind:     by_value
      - .offset:         20
        .size:           4
        .value_kind:     by_value
      - .offset:         24
        .size:           4
        .value_kind:     hidden_block_count_x
      - .offset:         28
        .size:           4
        .value_kind:     hidden_block_count_y
      - .offset:         32
        .size:           4
        .value_kind:     hidden_block_count_z
      - .offset:         36
        .size:           2
        .value_kind:     hidden_group_size_x
      - .offset:         38
        .size:           2
        .value_kind:     hidden_group_size_y
      - .offset:         40
        .size:           2
        .value_kind:     hidden_group_size_z
      - .offset:         42
        .size:           2
        .value_kind:     hidden_remainder_x
      - .offset:         44
        .size:           2
        .value_kind:     hidden_remainder_y
      - .offset:         46
        .size:           2
        .value_kind:     hidden_remainder_z
      - .offset:         64
        .size:           8
        .value_kind:     hidden_global_offset_x
      - .offset:         72
        .size:           8
        .value_kind:     hidden_global_offset_y
      - .offset:         80
        .size:           8
        .value_kind:     hidden_global_offset_z
      - .offset:         88
        .size:           2
        .value_kind:     hidden_grid_dims
    .group_segment_fixed_size: 0
    .kernarg_segment_align: 8
    .kernarg_segment_size: 280
    .language:       OpenCL C
    .language_version:
      - 2
      - 0
    .max_flat_workgroup_size: 1024
    .name:           _ZN9rocsolver6v33100L16reset_batch_infoI19rocblas_complex_numIdEiiPS3_EEvT2_lT0_T1_
    .private_segment_fixed_size: 0
    .sgpr_count:     16
    .sgpr_spill_count: 0
    .symbol:         _ZN9rocsolver6v33100L16reset_batch_infoI19rocblas_complex_numIdEiiPS3_EEvT2_lT0_T1_.kd
    .uniform_work_group_size: 1
    .uses_dynamic_stack: false
    .vgpr_count:     6
    .vgpr_spill_count: 0
    .wavefront_size: 64
  - .args:
      - .offset:         0
        .size:           4
        .value_kind:     by_value
      - .offset:         4
        .size:           4
        .value_kind:     by_value
      - .address_space:  global
        .offset:         8
        .size:           8
        .value_kind:     global_buffer
      - .offset:         16
        .size:           4
        .value_kind:     by_value
      - .offset:         20
        .size:           4
        .value_kind:     by_value
      - .offset:         24
        .size:           8
        .value_kind:     by_value
      - .offset:         32
        .size:           4
        .value_kind:     hidden_block_count_x
      - .offset:         36
        .size:           4
        .value_kind:     hidden_block_count_y
      - .offset:         40
        .size:           4
        .value_kind:     hidden_block_count_z
      - .offset:         44
        .size:           2
        .value_kind:     hidden_group_size_x
      - .offset:         46
        .size:           2
        .value_kind:     hidden_group_size_y
      - .offset:         48
        .size:           2
        .value_kind:     hidden_group_size_z
      - .offset:         50
        .size:           2
        .value_kind:     hidden_remainder_x
      - .offset:         52
        .size:           2
        .value_kind:     hidden_remainder_y
      - .offset:         54
        .size:           2
        .value_kind:     hidden_remainder_z
      - .offset:         72
        .size:           8
        .value_kind:     hidden_global_offset_x
      - .offset:         80
        .size:           8
        .value_kind:     hidden_global_offset_y
      - .offset:         88
        .size:           8
        .value_kind:     hidden_global_offset_z
      - .offset:         96
        .size:           2
        .value_kind:     hidden_grid_dims
    .group_segment_fixed_size: 0
    .kernarg_segment_align: 8
    .kernarg_segment_size: 288
    .language:       OpenCL C
    .language_version:
      - 2
      - 0
    .max_flat_workgroup_size: 1024
    .name:           _ZN9rocsolver6v33100L10init_identI19rocblas_complex_numIdEPS3_EEviiT0_iil
    .private_segment_fixed_size: 0
    .sgpr_count:     13
    .sgpr_spill_count: 0
    .symbol:         _ZN9rocsolver6v33100L10init_identI19rocblas_complex_numIdEPS3_EEviiT0_iil.kd
    .uniform_work_group_size: 1
    .uses_dynamic_stack: false
    .vgpr_count:     6
    .vgpr_spill_count: 0
    .wavefront_size: 64
  - .args:
      - .offset:         0
        .size:           4
        .value_kind:     by_value
      - .offset:         4
        .size:           4
        .value_kind:     by_value
      - .offset:         8
        .size:           4
        .value_kind:     by_value
      - .offset:         12
        .size:           4
        .value_kind:     by_value
      - .offset:         16
        .size:           4
        .value_kind:     by_value
      - .address_space:  global
        .offset:         24
        .size:           8
        .value_kind:     global_buffer
      - .offset:         32
        .size:           8
        .value_kind:     by_value
      - .address_space:  global
        .offset:         40
        .size:           8
        .value_kind:     global_buffer
      - .offset:         48
        .size:           8
        .value_kind:     by_value
      - .address_space:  global
        .offset:         56
        .size:           8
        .value_kind:     global_buffer
      - .offset:         64
        .size:           8
        .value_kind:     by_value
      - .offset:         72
        .size:           4
        .value_kind:     by_value
      - .offset:         80
        .size:           8
        .value_kind:     by_value
      - .offset:         88
        .size:           4
        .value_kind:     by_value
      - .offset:         96
        .size:           4
        .value_kind:     hidden_block_count_x
      - .offset:         100
        .size:           4
        .value_kind:     hidden_block_count_y
      - .offset:         104
        .size:           4
        .value_kind:     hidden_block_count_z
      - .offset:         108
        .size:           2
        .value_kind:     hidden_group_size_x
      - .offset:         110
        .size:           2
        .value_kind:     hidden_group_size_y
      - .offset:         112
        .size:           2
        .value_kind:     hidden_group_size_z
      - .offset:         114
        .size:           2
        .value_kind:     hidden_remainder_x
      - .offset:         116
        .size:           2
        .value_kind:     hidden_remainder_y
      - .offset:         118
        .size:           2
        .value_kind:     hidden_remainder_z
      - .offset:         136
        .size:           8
        .value_kind:     hidden_global_offset_x
      - .offset:         144
        .size:           8
        .value_kind:     hidden_global_offset_y
      - .offset:         152
        .size:           8
        .value_kind:     hidden_global_offset_z
      - .offset:         160
        .size:           2
        .value_kind:     hidden_grid_dims
    .group_segment_fixed_size: 0
    .kernarg_segment_align: 8
    .kernarg_segment_size: 352
    .language:       OpenCL C
    .language_version:
      - 2
      - 0
    .max_flat_workgroup_size: 64
    .name:           _ZN9rocsolver6v33100L11lasr_kernelI19rocblas_complex_numIdEdPS3_iEEv13rocblas_side_14rocblas_pivot_15rocblas_direct_T2_S8_PT0_lSA_lT1_lS8_lS8_
    .private_segment_fixed_size: 0
    .sgpr_count:     100
    .sgpr_spill_count: 11
    .symbol:         _ZN9rocsolver6v33100L11lasr_kernelI19rocblas_complex_numIdEdPS3_iEEv13rocblas_side_14rocblas_pivot_15rocblas_direct_T2_S8_PT0_lSA_lT1_lS8_lS8_.kd
    .uniform_work_group_size: 1
    .uses_dynamic_stack: false
    .vgpr_count:     57
    .vgpr_spill_count: 0
    .wavefront_size: 64
  - .args:
      - .offset:         0
        .size:           4
        .value_kind:     by_value
      - .address_space:  global
        .offset:         8
        .size:           8
        .value_kind:     global_buffer
      - .offset:         16
        .size:           4
        .value_kind:     by_value
      - .address_space:  global
        .offset:         24
        .size:           8
        .value_kind:     global_buffer
      - .offset:         32
        .size:           4
        .value_kind:     by_value
      - .offset:         40
        .size:           4
        .value_kind:     hidden_block_count_x
      - .offset:         44
        .size:           4
        .value_kind:     hidden_block_count_y
      - .offset:         48
        .size:           4
        .value_kind:     hidden_block_count_z
      - .offset:         52
        .size:           2
        .value_kind:     hidden_group_size_x
      - .offset:         54
        .size:           2
        .value_kind:     hidden_group_size_y
      - .offset:         56
        .size:           2
        .value_kind:     hidden_group_size_z
      - .offset:         58
        .size:           2
        .value_kind:     hidden_remainder_x
      - .offset:         60
        .size:           2
        .value_kind:     hidden_remainder_y
      - .offset:         62
        .size:           2
        .value_kind:     hidden_remainder_z
      - .offset:         80
        .size:           8
        .value_kind:     hidden_global_offset_x
      - .offset:         88
        .size:           8
        .value_kind:     hidden_global_offset_y
      - .offset:         96
        .size:           8
        .value_kind:     hidden_global_offset_z
      - .offset:         104
        .size:           2
        .value_kind:     hidden_grid_dims
    .group_segment_fixed_size: 32768
    .kernarg_segment_align: 8
    .kernarg_segment_size: 296
    .language:       OpenCL C
    .language_version:
      - 2
      - 0
    .max_flat_workgroup_size: 1024
    .name:           _ZN9rocsolver6v33100L11swap_kernelI19rocblas_complex_numIdEiEEvT0_PT_S4_S6_S4_
    .private_segment_fixed_size: 0
    .sgpr_count:     21
    .sgpr_spill_count: 0
    .symbol:         _ZN9rocsolver6v33100L11swap_kernelI19rocblas_complex_numIdEiEEvT0_PT_S4_S6_S4_.kd
    .uniform_work_group_size: 1
    .uses_dynamic_stack: false
    .vgpr_count:     19
    .vgpr_spill_count: 0
    .wavefront_size: 64
  - .args:
      - .offset:         0
        .size:           4
        .value_kind:     by_value
      - .address_space:  global
        .offset:         8
        .size:           8
        .value_kind:     global_buffer
      - .offset:         16
        .size:           8
        .value_kind:     by_value
      - .address_space:  global
        .offset:         24
        .size:           8
        .value_kind:     global_buffer
      - .offset:         32
        .size:           8
        .value_kind:     by_value
      - .address_space:  global
        .offset:         40
        .size:           8
        .value_kind:     global_buffer
      - .offset:         48
        .size:           4
        .value_kind:     by_value
      - .offset:         52
        .size:           4
        .value_kind:     by_value
      - .offset:         56
        .size:           8
        .value_kind:     by_value
      - .address_space:  global
        .offset:         64
        .size:           8
        .value_kind:     global_buffer
      - .address_space:  global
        .offset:         72
        .size:           8
        .value_kind:     global_buffer
      - .offset:         80
        .size:           4
        .value_kind:     by_value
      - .offset:         88
        .size:           8
        .value_kind:     by_value
      - .offset:         96
        .size:           8
        .value_kind:     by_value
      - .offset:         104
        .size:           8
        .value_kind:     by_value
      - .offset:         112
        .size:           4
        .value_kind:     hidden_block_count_x
      - .offset:         116
        .size:           4
        .value_kind:     hidden_block_count_y
      - .offset:         120
        .size:           4
        .value_kind:     hidden_block_count_z
      - .offset:         124
        .size:           2
        .value_kind:     hidden_group_size_x
      - .offset:         126
        .size:           2
        .value_kind:     hidden_group_size_y
      - .offset:         128
        .size:           2
        .value_kind:     hidden_group_size_z
      - .offset:         130
        .size:           2
        .value_kind:     hidden_remainder_x
      - .offset:         132
        .size:           2
        .value_kind:     hidden_remainder_y
      - .offset:         134
        .size:           2
        .value_kind:     hidden_remainder_z
      - .offset:         152
        .size:           8
        .value_kind:     hidden_global_offset_x
      - .offset:         160
        .size:           8
        .value_kind:     hidden_global_offset_y
      - .offset:         168
        .size:           8
        .value_kind:     hidden_global_offset_z
      - .offset:         176
        .size:           2
        .value_kind:     hidden_grid_dims
    .group_segment_fixed_size: 16432
    .kernarg_segment_align: 8
    .kernarg_segment_size: 368
    .language:       OpenCL C
    .language_version:
      - 2
      - 0
    .max_flat_workgroup_size: 1024
    .name:           _ZN9rocsolver6v33100L12steqr_kernelI19rocblas_complex_numIdEdPS3_EEviPT0_lS6_lT1_iilPiS6_iS5_S5_S5_
    .private_segment_fixed_size: 36
    .sgpr_count:     104
    .sgpr_spill_count: 10
    .symbol:         _ZN9rocsolver6v33100L12steqr_kernelI19rocblas_complex_numIdEdPS3_EEviPT0_lS6_lT1_iilPiS6_iS5_S5_S5_.kd
    .uniform_work_group_size: 1
    .uses_dynamic_stack: false
    .vgpr_count:     64
    .vgpr_spill_count: 8
    .wavefront_size: 64
  - .args:
      - .offset:         0
        .size:           4
        .value_kind:     by_value
      - .offset:         4
        .size:           4
        .value_kind:     by_value
      - .offset:         8
        .size:           4
        .value_kind:     by_value
      - .address_space:  global
        .offset:         16
        .size:           8
        .value_kind:     global_buffer
      - .offset:         24
        .size:           4
        .value_kind:     by_value
      - .offset:         28
        .size:           4
        .value_kind:     by_value
      - .offset:         32
        .size:           8
        .value_kind:     by_value
      - .address_space:  global
        .offset:         40
        .size:           8
        .value_kind:     global_buffer
      - .offset:         48
        .size:           4
        .value_kind:     by_value
      - .offset:         52
        .size:           4
        .value_kind:     by_value
      - .offset:         56
        .size:           4
        .value_kind:     hidden_block_count_x
      - .offset:         60
        .size:           4
        .value_kind:     hidden_block_count_y
      - .offset:         64
        .size:           4
        .value_kind:     hidden_block_count_z
      - .offset:         68
        .size:           2
        .value_kind:     hidden_group_size_x
      - .offset:         70
        .size:           2
        .value_kind:     hidden_group_size_y
      - .offset:         72
        .size:           2
        .value_kind:     hidden_group_size_z
      - .offset:         74
        .size:           2
        .value_kind:     hidden_remainder_x
      - .offset:         76
        .size:           2
        .value_kind:     hidden_remainder_y
      - .offset:         78
        .size:           2
        .value_kind:     hidden_remainder_z
      - .offset:         96
        .size:           8
        .value_kind:     hidden_global_offset_x
      - .offset:         104
        .size:           8
        .value_kind:     hidden_global_offset_y
      - .offset:         112
        .size:           8
        .value_kind:     hidden_global_offset_z
      - .offset:         120
        .size:           2
        .value_kind:     hidden_grid_dims
    .group_segment_fixed_size: 0
    .kernarg_segment_align: 8
    .kernarg_segment_size: 312
    .language:       OpenCL C
    .language_version:
      - 2
      - 0
    .max_flat_workgroup_size: 1024
    .name:           _ZN9rocsolver6v33100L8copy_matI19rocblas_complex_numIdEdLb0EPS3_TnNSt9enable_ifIX18rocblas_is_complexIT_EEiE4typeELi0EEEvNS0_17copymat_directionEiiT2_iilPT0_13rocblas_fill_17rocblas_diagonal_
    .private_segment_fixed_size: 0
    .sgpr_count:     28
    .sgpr_spill_count: 0
    .symbol:         _ZN9rocsolver6v33100L8copy_matI19rocblas_complex_numIdEdLb0EPS3_TnNSt9enable_ifIX18rocblas_is_complexIT_EEiE4typeELi0EEEvNS0_17copymat_directionEiiT2_iilPT0_13rocblas_fill_17rocblas_diagonal_.kd
    .uniform_work_group_size: 1
    .uses_dynamic_stack: false
    .vgpr_count:     8
    .vgpr_spill_count: 0
    .wavefront_size: 64
  - .args:
      - .offset:         0
        .size:           4
        .value_kind:     by_value
      - .offset:         4
        .size:           4
        .value_kind:     by_value
      - .address_space:  global
        .offset:         8
        .size:           8
        .value_kind:     global_buffer
      - .offset:         16
        .size:           4
        .value_kind:     by_value
      - .offset:         20
        .size:           4
        .value_kind:     by_value
      - .offset:         24
        .size:           8
        .value_kind:     by_value
      - .offset:         32
        .size:           4
        .value_kind:     by_value
      - .offset:         40
        .size:           4
        .value_kind:     hidden_block_count_x
      - .offset:         44
        .size:           4
        .value_kind:     hidden_block_count_y
      - .offset:         48
        .size:           4
        .value_kind:     hidden_block_count_z
      - .offset:         52
        .size:           2
        .value_kind:     hidden_group_size_x
      - .offset:         54
        .size:           2
        .value_kind:     hidden_group_size_y
      - .offset:         56
        .size:           2
        .value_kind:     hidden_group_size_z
      - .offset:         58
        .size:           2
        .value_kind:     hidden_remainder_x
      - .offset:         60
        .size:           2
        .value_kind:     hidden_remainder_y
      - .offset:         62
        .size:           2
        .value_kind:     hidden_remainder_z
      - .offset:         80
        .size:           8
        .value_kind:     hidden_global_offset_x
      - .offset:         88
        .size:           8
        .value_kind:     hidden_global_offset_y
      - .offset:         96
        .size:           8
        .value_kind:     hidden_global_offset_z
      - .offset:         104
        .size:           2
        .value_kind:     hidden_grid_dims
    .group_segment_fixed_size: 0
    .kernarg_segment_align: 8
    .kernarg_segment_size: 296
    .language:       OpenCL C
    .language_version:
      - 2
      - 0
    .max_flat_workgroup_size: 1024
    .name:           _ZN9rocsolver6v33100L8set_zeroI19rocblas_complex_numIdEPS3_EEviiT0_iil13rocblas_fill_
    .private_segment_fixed_size: 0
    .sgpr_count:     13
    .sgpr_spill_count: 0
    .symbol:         _ZN9rocsolver6v33100L8set_zeroI19rocblas_complex_numIdEPS3_EEviiT0_iil13rocblas_fill_.kd
    .uniform_work_group_size: 1
    .uses_dynamic_stack: false
    .vgpr_count:     6
    .vgpr_spill_count: 0
    .wavefront_size: 64
  - .args:
      - .offset:         0
        .size:           4
        .value_kind:     by_value
      - .offset:         4
        .size:           4
        .value_kind:     by_value
      - .offset:         8
        .size:           4
        .value_kind:     by_value
      - .address_space:  global
        .offset:         16
        .size:           8
        .value_kind:     global_buffer
      - .offset:         24
        .size:           4
        .value_kind:     by_value
      - .offset:         28
        .size:           4
        .value_kind:     by_value
      - .offset:         32
        .size:           8
        .value_kind:     by_value
      - .address_space:  global
        .offset:         40
        .size:           8
        .value_kind:     global_buffer
      - .offset:         48
        .size:           4
        .value_kind:     by_value
      - .offset:         52
        .size:           4
        .value_kind:     by_value
      - .offset:         56
        .size:           4
        .value_kind:     hidden_block_count_x
      - .offset:         60
        .size:           4
        .value_kind:     hidden_block_count_y
      - .offset:         64
        .size:           4
        .value_kind:     hidden_block_count_z
      - .offset:         68
        .size:           2
        .value_kind:     hidden_group_size_x
      - .offset:         70
        .size:           2
        .value_kind:     hidden_group_size_y
      - .offset:         72
        .size:           2
        .value_kind:     hidden_group_size_z
      - .offset:         74
        .size:           2
        .value_kind:     hidden_remainder_x
      - .offset:         76
        .size:           2
        .value_kind:     hidden_remainder_y
      - .offset:         78
        .size:           2
        .value_kind:     hidden_remainder_z
      - .offset:         96
        .size:           8
        .value_kind:     hidden_global_offset_x
      - .offset:         104
        .size:           8
        .value_kind:     hidden_global_offset_y
      - .offset:         112
        .size:           8
        .value_kind:     hidden_global_offset_z
      - .offset:         120
        .size:           2
        .value_kind:     hidden_grid_dims
    .group_segment_fixed_size: 0
    .kernarg_segment_align: 8
    .kernarg_segment_size: 312
    .language:       OpenCL C
    .language_version:
      - 2
      - 0
    .max_flat_workgroup_size: 1024
    .name:           _ZN9rocsolver6v33100L8copy_matI19rocblas_complex_numIdEdLb1EPS3_TnNSt9enable_ifIX18rocblas_is_complexIT_EEiE4typeELi0EEEvNS0_17copymat_directionEiiT2_iilPT0_13rocblas_fill_17rocblas_diagonal_
    .private_segment_fixed_size: 0
    .sgpr_count:     28
    .sgpr_spill_count: 0
    .symbol:         _ZN9rocsolver6v33100L8copy_matI19rocblas_complex_numIdEdLb1EPS3_TnNSt9enable_ifIX18rocblas_is_complexIT_EEiE4typeELi0EEEvNS0_17copymat_directionEiiT2_iilPT0_13rocblas_fill_17rocblas_diagonal_.kd
    .uniform_work_group_size: 1
    .uses_dynamic_stack: false
    .vgpr_count:     9
    .vgpr_spill_count: 0
    .wavefront_size: 64
  - .args:
      - .offset:         0
        .size:           4
        .value_kind:     by_value
      - .address_space:  global
        .offset:         8
        .size:           8
        .value_kind:     global_buffer
      - .offset:         16
        .size:           4
        .value_kind:     by_value
      - .offset:         20
        .size:           4
        .value_kind:     by_value
      - .offset:         24
        .size:           8
        .value_kind:     by_value
      - .address_space:  global
        .offset:         32
        .size:           8
        .value_kind:     global_buffer
      - .offset:         40
        .size:           4
        .value_kind:     by_value
      - .offset:         44
        .size:           4
        .value_kind:     by_value
      - .offset:         48
        .size:           8
        .value_kind:     by_value
      - .offset:         56
        .size:           4
        .value_kind:     hidden_block_count_x
      - .offset:         60
        .size:           4
        .value_kind:     hidden_block_count_y
      - .offset:         64
        .size:           4
        .value_kind:     hidden_block_count_z
      - .offset:         68
        .size:           2
        .value_kind:     hidden_group_size_x
      - .offset:         70
        .size:           2
        .value_kind:     hidden_group_size_y
      - .offset:         72
        .size:           2
        .value_kind:     hidden_group_size_z
      - .offset:         74
        .size:           2
        .value_kind:     hidden_remainder_x
      - .offset:         76
        .size:           2
        .value_kind:     hidden_remainder_y
      - .offset:         78
        .size:           2
        .value_kind:     hidden_remainder_z
      - .offset:         96
        .size:           8
        .value_kind:     hidden_global_offset_x
      - .offset:         104
        .size:           8
        .value_kind:     hidden_global_offset_y
      - .offset:         112
        .size:           8
        .value_kind:     hidden_global_offset_z
      - .offset:         120
        .size:           2
        .value_kind:     hidden_grid_dims
    .group_segment_fixed_size: 0
    .kernarg_segment_align: 8
    .kernarg_segment_size: 312
    .language:       OpenCL C
    .language_version:
      - 2
      - 0
    .max_flat_workgroup_size: 512
    .name:           _ZN9rocsolver6v33100L11stedc_copyCI19rocblas_complex_numIdEPS3_S4_EEviT0_iilT1_iil
    .private_segment_fixed_size: 272
    .sgpr_count:     80
    .sgpr_spill_count: 0
    .symbol:         _ZN9rocsolver6v33100L11stedc_copyCI19rocblas_complex_numIdEPS3_S4_EEviT0_iilT1_iil.kd
    .uniform_work_group_size: 1
    .uses_dynamic_stack: false
    .vgpr_count:     38
    .vgpr_spill_count: 0
    .wavefront_size: 64
  - .args:
      - .offset:         0
        .size:           4
        .value_kind:     by_value
      - .address_space:  global
        .offset:         8
        .size:           8
        .value_kind:     global_buffer
      - .offset:         16
        .size:           8
        .value_kind:     by_value
      - .address_space:  global
        .offset:         24
        .size:           8
        .value_kind:     global_buffer
      - .offset:         32
        .size:           8
        .value_kind:     by_value
      - .address_space:  global
        .offset:         40
        .size:           8
        .value_kind:     global_buffer
      - .offset:         48
        .size:           4
        .value_kind:     by_value
      - .offset:         52
        .size:           4
        .value_kind:     by_value
      - .offset:         56
        .size:           8
        .value_kind:     by_value
      - .address_space:  global
        .offset:         64
        .size:           8
        .value_kind:     global_buffer
      - .offset:         72
        .size:           4
        .value_kind:     by_value
      - .offset:         76
        .size:           4
        .value_kind:     by_value
      - .offset:         80
        .size:           8
        .value_kind:     by_value
      - .offset:         88
        .size:           4
        .value_kind:     hidden_block_count_x
      - .offset:         92
        .size:           4
        .value_kind:     hidden_block_count_y
      - .offset:         96
        .size:           4
        .value_kind:     hidden_block_count_z
      - .offset:         100
        .size:           2
        .value_kind:     hidden_group_size_x
      - .offset:         102
        .size:           2
        .value_kind:     hidden_group_size_y
      - .offset:         104
        .size:           2
        .value_kind:     hidden_group_size_z
      - .offset:         106
        .size:           2
        .value_kind:     hidden_remainder_x
      - .offset:         108
        .size:           2
        .value_kind:     hidden_remainder_y
      - .offset:         110
        .size:           2
        .value_kind:     hidden_remainder_z
      - .offset:         128
        .size:           8
        .value_kind:     hidden_global_offset_x
      - .offset:         136
        .size:           8
        .value_kind:     hidden_global_offset_y
      - .offset:         144
        .size:           8
        .value_kind:     hidden_global_offset_z
      - .offset:         152
        .size:           2
        .value_kind:     hidden_grid_dims
    .group_segment_fixed_size: 10240
    .kernarg_segment_align: 8
    .kernarg_segment_size: 344
    .language:       OpenCL C
    .language_version:
      - 2
      - 0
    .max_flat_workgroup_size: 512
    .name:           _ZN9rocsolver6v33100L10stedc_sortI19rocblas_complex_numIdEdPS3_S4_EEviPT0_lS6_lT1_iilT2_iil
    .private_segment_fixed_size: 128
    .sgpr_count:     83
    .sgpr_spill_count: 0
    .symbol:         _ZN9rocsolver6v33100L10stedc_sortI19rocblas_complex_numIdEdPS3_S4_EEviPT0_lS6_lT1_iilT2_iil.kd
    .uniform_work_group_size: 1
    .uses_dynamic_stack: false
    .vgpr_count:     69
    .vgpr_spill_count: 0
    .wavefront_size: 64
amdhsa.target:   amdgcn-amd-amdhsa--gfx906
amdhsa.version:
  - 1
  - 2
...

	.end_amdgpu_metadata
